;; amdgpu-corpus repo=pytorch/pytorch kind=compiled arch=gfx906 opt=O3
	.amdgcn_target "amdgcn-amd-amdhsa--gfx906"
	.amdhsa_code_object_version 6
	.section	.text._ZN2at6native12_GLOBAL__N_126adaptive_average_pool_nhwcIidEEvPKT0_PS3_iiiiiiiiT_S7_S7_S7_,"axG",@progbits,_ZN2at6native12_GLOBAL__N_126adaptive_average_pool_nhwcIidEEvPKT0_PS3_iiiiiiiiT_S7_S7_S7_,comdat
	.globl	_ZN2at6native12_GLOBAL__N_126adaptive_average_pool_nhwcIidEEvPKT0_PS3_iiiiiiiiT_S7_S7_S7_ ; -- Begin function _ZN2at6native12_GLOBAL__N_126adaptive_average_pool_nhwcIidEEvPKT0_PS3_iiiiiiiiT_S7_S7_S7_
	.p2align	8
	.type	_ZN2at6native12_GLOBAL__N_126adaptive_average_pool_nhwcIidEEvPKT0_PS3_iiiiiiiiT_S7_S7_S7_,@function
_ZN2at6native12_GLOBAL__N_126adaptive_average_pool_nhwcIidEEvPKT0_PS3_iiiiiiiiT_S7_S7_S7_: ; @_ZN2at6native12_GLOBAL__N_126adaptive_average_pool_nhwcIidEEvPKT0_PS3_iiiiiiiiT_S7_S7_S7_
; %bb.0:
	s_load_dwordx4 s[0:3], s[4:5], 0x44
	s_load_dwordx4 s[20:23], s[4:5], 0x30
	;; [unrolled: 1-line block ×3, first 2 shown]
	s_load_dwordx8 s[12:19], s[4:5], 0x10
	s_waitcnt lgkmcnt(0)
	s_lshr_b32 s36, s2, 16
	s_and_b32 s9, s2, 0xffff
	v_mad_u32_u24 v12, v2, s36, v1
	s_and_b32 s33, s3, 0xffff
	v_mad_u64_u32 v[3:4], s[2:3], v12, s9, v[0:1]
	s_mul_i32 s2, s19, s9
	s_mul_i32 s10, s2, s36
	s_mul_i32 s10, s10, s33
	v_cmp_gt_u32_e32 vcc, s10, v3
	s_and_saveexec_b64 s[2:3], vcc
	s_cbranch_execz .LBB0_3
; %bb.1:
	s_mul_i32 s11, s36, s9
	s_mul_i32 s11, s11, s33
	v_mov_b32_e32 v4, 0
	v_lshl_add_u32 v6, v3, 3, 0
	s_lshl_b32 s28, s11, 3
	s_mov_b64 s[4:5], 0
	v_mov_b32_e32 v5, v4
.LBB0_2:                                ; =>This Inner Loop Header: Depth=1
	v_add_u32_e32 v3, s11, v3
	v_cmp_le_u32_e32 vcc, s10, v3
	ds_write_b64 v6, v[4:5]
	s_or_b64 s[4:5], vcc, s[4:5]
	v_add_u32_e32 v6, s28, v6
	s_andn2_b64 exec, exec, s[4:5]
	s_cbranch_execnz .LBB0_2
.LBB0_3:
	s_or_b64 exec, exec, s[2:3]
	v_cvt_f32_u32_e32 v4, s1
	v_cvt_f32_u32_e32 v3, s12
	s_sub_i32 s5, 0, s1
	s_add_i32 s4, s16, -1
	v_rcp_iflag_f32_e32 v4, v4
	v_rcp_iflag_f32_e32 v3, v3
	s_add_i32 s3, s4, s1
	s_waitcnt lgkmcnt(0)
	v_mul_f32_e32 v4, 0x4f7ffffe, v4
	v_cvt_u32_f32_e32 v4, v4
	v_mul_f32_e32 v3, 0x4f7ffffe, v3
	v_cvt_u32_f32_e32 v3, v3
	s_barrier
	v_readfirstlane_b32 s10, v4
	s_mul_i32 s5, s5, s10
	s_mul_hi_u32 s5, s10, s5
	s_add_i32 s10, s10, s5
	v_readfirstlane_b32 s2, v3
	s_mul_hi_u32 s5, s3, s10
	v_cvt_f32_u32_e32 v3, s0
	s_mul_i32 s10, s5, s1
	s_sub_i32 s3, s3, s10
	s_add_i32 s10, s5, 1
	s_sub_i32 s11, s3, s1
	v_rcp_iflag_f32_e32 v3, v3
	s_cmp_ge_u32 s3, s1
	s_cselect_b32 s5, s10, s5
	s_cselect_b32 s3, s11, s3
	s_add_i32 s10, s5, 1
	s_cmp_ge_u32 s3, s1
	v_mul_f32_e32 v3, 0x4f7ffffe, v3
	s_cselect_b32 s3, s10, s5
	v_cvt_u32_f32_e32 v3, v3
	s_mul_i32 s5, s3, s8
	v_add_u32_e32 v6, s5, v2
	v_add_u32_e32 v2, s3, v6
	v_min_i32_e32 v7, s16, v2
	v_readfirstlane_b32 s1, v3
	v_cmp_lt_i32_e32 vcc, v6, v7
	s_and_saveexec_b64 s[10:11], vcc
	s_cbranch_execz .LBB0_21
; %bb.4:
	s_sub_i32 s3, 0, s12
	s_mul_i32 s3, s3, s2
	s_mul_hi_u32 s3, s2, s3
	s_add_i32 s2, s2, s3
	s_sub_i32 s3, 0, s0
	s_mul_i32 s3, s3, s1
	s_mul_hi_u32 s2, s6, s2
	s_mul_hi_u32 s3, s1, s3
	s_add_i32 s1, s1, s3
	s_mul_i32 s3, s2, s12
	s_add_i32 s5, s17, -1
	s_sub_i32 s3, s6, s3
	s_add_i32 s8, s5, s0
	s_add_i32 s10, s2, 1
	s_sub_i32 s11, s3, s12
	s_cmp_ge_u32 s3, s12
	s_cselect_b32 s2, s10, s2
	s_cselect_b32 s3, s11, s3
	s_add_i32 s10, s2, 1
	s_cmp_ge_u32 s3, s12
	s_cselect_b32 s2, s10, s2
	s_mul_i32 s3, s2, s12
	s_mul_i32 s2, s2, s9
	v_add_u32_e32 v8, s2, v0
	s_mul_i32 s2, s16, s13
	s_sub_i32 s6, s6, s3
	s_mul_i32 s2, s2, s17
	s_mul_i32 s2, s2, s6
	s_ashr_i32 s3, s2, 31
	s_lshl_b64 s[2:3], s[2:3], 3
	s_add_u32 s12, s26, s2
	s_mul_i32 s2, s6, s20
	s_addc_u32 s37, s27, s3
	s_ashr_i32 s3, s2, 31
	s_mul_hi_u32 s1, s8, s1
	s_lshl_b64 s[2:3], s[2:3], 3
	s_add_u32 s38, s24, s2
	s_mul_i32 s2, s1, s0
	s_addc_u32 s39, s25, s3
	s_sub_i32 s2, s8, s2
	s_add_i32 s3, s1, 1
	s_sub_i32 s6, s2, s0
	s_cmp_ge_u32 s2, s0
	s_cselect_b32 s1, s3, s1
	s_cselect_b32 s2, s6, s2
	s_add_i32 s3, s1, 1
	s_cmp_ge_u32 s2, s0
	s_cselect_b32 s0, s3, s1
	s_abs_i32 s40, s16
	v_cvt_f32_u32_e32 v2, s40
	s_abs_i32 s41, s17
	v_cvt_f32_u32_e32 v3, s41
	s_mul_i32 s1, s0, s7
	v_rcp_iflag_f32_e32 v2, v2
	v_add_u32_e32 v9, s1, v1
	v_add_u32_e32 v1, s0, v9
	v_min_i32_e32 v10, s17, v1
	v_mul_f32_e32 v1, 0x4f7ffffe, v2
	v_rcp_iflag_f32_e32 v2, v3
	v_cvt_u32_f32_e32 v1, v1
	s_sub_i32 s2, 0, s40
	s_sub_i32 s6, 0, s41
	v_mul_f32_e32 v2, 0x4f7ffffe, v2
	v_mul_lo_u32 v3, s2, v1
	v_cvt_u32_f32_e32 v2, v2
	v_mul_lo_u32 v13, s21, v8
	s_mul_i32 s42, s18, s9
	v_mul_hi_u32 v3, v1, v3
	v_mul_lo_u32 v4, s6, v2
	v_lshlrev_b32_e32 v0, 3, v0
	v_cmp_lt_i32_e64 s[0:1], v9, v10
	v_add_u32_e32 v11, v1, v3
	v_mul_hi_u32 v1, v2, v4
	v_mul_lo_u32 v3, s19, v12
	v_cmp_gt_i32_e64 s[2:3], s13, v8
	s_ashr_i32 s16, s16, 31
	v_add_u32_e32 v12, v2, v1
	v_mul_lo_u32 v1, v3, s9
	s_add_i32 s43, s14, s4
	s_ashr_i32 s44, s17, 31
	s_add_i32 s45, s15, s5
	v_lshlrev_b32_e32 v1, 3, v1
	s_mul_i32 s46, s42, s21
	v_add3_u32 v14, v1, v0, 0
	s_lshl_b32 s47, s9, 3
	s_mov_b64 s[8:9], 0
	v_mov_b32_e32 v0, 0
	s_branch .LBB0_6
.LBB0_5:                                ;   in Loop: Header=BB0_6 Depth=1
	s_or_b64 exec, exec, s[10:11]
	v_add_u32_e32 v6, s33, v6
	v_cmp_ge_i32_e32 vcc, v6, v7
	s_or_b64 s[8:9], vcc, s[8:9]
	s_andn2_b64 exec, exec, s[8:9]
	s_cbranch_execz .LBB0_21
.LBB0_6:                                ; =>This Loop Header: Depth=1
                                        ;     Child Loop BB0_9 Depth 2
                                        ;       Child Loop BB0_12 Depth 3
                                        ;         Child Loop BB0_15 Depth 4
                                        ;           Child Loop BB0_17 Depth 5
                                        ;       Child Loop BB0_20 Depth 3
	s_and_saveexec_b64 s[10:11], s[0:1]
	s_cbranch_execz .LBB0_5
; %bb.7:                                ;   in Loop: Header=BB0_6 Depth=1
	v_mul_lo_u32 v1, v6, s14
	v_mul_lo_u32 v18, v6, s17
	s_mov_b64 s[18:19], 0
	v_mov_b32_e32 v19, v9
	v_sub_u32_e32 v2, 0, v1
	v_max_i32_e32 v2, v1, v2
	v_mul_hi_u32 v3, v2, v11
	v_ashrrev_i32_e32 v4, 31, v1
	v_add_u32_e32 v1, s43, v1
	v_sub_u32_e32 v15, 0, v1
	v_mul_lo_u32 v5, v3, s40
	v_max_i32_e32 v16, v1, v15
	v_mul_hi_u32 v17, v16, v11
	v_add_u32_e32 v15, 1, v3
	v_sub_u32_e32 v2, v2, v5
	v_cmp_le_u32_e32 vcc, s40, v2
	v_subrev_u32_e32 v5, s40, v2
	v_cndmask_b32_e32 v3, v3, v15, vcc
	v_cndmask_b32_e32 v2, v2, v5, vcc
	v_add_u32_e32 v5, 1, v3
	v_cmp_le_u32_e32 vcc, s40, v2
	v_cndmask_b32_e32 v2, v3, v5, vcc
	v_mul_lo_u32 v3, v17, s40
	v_xor_b32_e32 v4, s16, v4
	v_xor_b32_e32 v2, v2, v4
	v_sub_u32_e32 v15, v2, v4
	v_sub_u32_e32 v2, v16, v3
	v_add_u32_e32 v3, 1, v17
	v_cmp_le_u32_e32 vcc, s40, v2
	v_subrev_u32_e32 v4, s40, v2
	v_cndmask_b32_e32 v3, v17, v3, vcc
	v_cndmask_b32_e32 v2, v2, v4, vcc
	v_ashrrev_i32_e32 v1, 31, v1
	v_add_u32_e32 v4, 1, v3
	v_cmp_le_u32_e32 vcc, s40, v2
	v_xor_b32_e32 v1, s16, v1
	v_cndmask_b32_e32 v2, v3, v4, vcc
	v_xor_b32_e32 v2, v2, v1
	v_sub_u32_e32 v16, v2, v1
	v_sub_u32_e32 v17, v16, v15
	v_cmp_gt_i32_e64 s[4:5], v16, v15
	s_branch .LBB0_9
.LBB0_8:                                ;   in Loop: Header=BB0_9 Depth=2
	s_or_b64 exec, exec, s[20:21]
	v_add_u32_e32 v19, s36, v19
	v_cmp_ge_i32_e32 vcc, v19, v10
	s_or_b64 s[18:19], vcc, s[18:19]
	s_andn2_b64 exec, exec, s[18:19]
	s_cbranch_execz .LBB0_5
.LBB0_9:                                ;   Parent Loop BB0_6 Depth=1
                                        ; =>  This Loop Header: Depth=2
                                        ;       Child Loop BB0_12 Depth 3
                                        ;         Child Loop BB0_15 Depth 4
                                        ;           Child Loop BB0_17 Depth 5
                                        ;       Child Loop BB0_20 Depth 3
	v_mul_lo_u32 v1, v19, s15
	v_sub_u32_e32 v2, 0, v1
	v_max_i32_e32 v2, v1, v2
	v_mul_hi_u32 v3, v2, v12
	v_ashrrev_i32_e32 v4, 31, v1
	v_add_u32_e32 v1, s45, v1
	v_sub_u32_e32 v20, 0, v1
	v_mul_lo_u32 v5, v3, s41
	v_max_i32_e32 v20, v1, v20
	v_add_u32_e32 v21, 1, v3
	v_xor_b32_e32 v4, s44, v4
	v_sub_u32_e32 v2, v2, v5
	v_cmp_le_u32_e32 vcc, s41, v2
	v_cndmask_b32_e32 v3, v3, v21, vcc
	v_mul_hi_u32 v21, v20, v12
	v_subrev_u32_e32 v5, s41, v2
	v_cndmask_b32_e32 v2, v2, v5, vcc
	v_add_u32_e32 v5, 1, v3
	v_cmp_le_u32_e32 vcc, s41, v2
	v_cndmask_b32_e32 v2, v3, v5, vcc
	v_mul_lo_u32 v5, v21, s41
	v_xor_b32_e32 v2, v2, v4
	v_sub_u32_e32 v3, v2, v4
	v_add_u32_e32 v4, 1, v21
	v_sub_u32_e32 v2, v20, v5
	v_cmp_le_u32_e32 vcc, s41, v2
	v_subrev_u32_e32 v5, s41, v2
	v_cndmask_b32_e32 v4, v21, v4, vcc
	v_cndmask_b32_e32 v2, v2, v5, vcc
	v_ashrrev_i32_e32 v1, 31, v1
	v_add_u32_e32 v5, 1, v4
	v_cmp_le_u32_e32 vcc, s41, v2
	v_xor_b32_e32 v1, s44, v1
	v_cndmask_b32_e32 v2, v4, v5, vcc
	v_xor_b32_e32 v2, v2, v1
	v_sub_u32_e32 v4, v2, v1
	s_and_saveexec_b64 s[20:21], s[4:5]
	s_cbranch_execz .LBB0_18
; %bb.10:                               ;   in Loop: Header=BB0_9 Depth=2
	v_cmp_gt_i32_e32 vcc, v4, v3
	s_mov_b64 s[24:25], 0
	v_mov_b32_e32 v5, v15
	s_branch .LBB0_12
.LBB0_11:                               ;   in Loop: Header=BB0_12 Depth=3
	s_or_b64 exec, exec, s[26:27]
	v_add_u32_e32 v5, 1, v5
	v_cmp_ge_i32_e64 s[6:7], v5, v16
	s_or_b64 s[24:25], s[6:7], s[24:25]
	s_andn2_b64 exec, exec, s[24:25]
	s_cbranch_execz .LBB0_18
.LBB0_12:                               ;   Parent Loop BB0_6 Depth=1
                                        ;     Parent Loop BB0_9 Depth=2
                                        ; =>    This Loop Header: Depth=3
                                        ;         Child Loop BB0_15 Depth 4
                                        ;           Child Loop BB0_17 Depth 5
	s_and_saveexec_b64 s[26:27], vcc
	s_cbranch_execz .LBB0_11
; %bb.13:                               ;   in Loop: Header=BB0_12 Depth=3
	v_mul_lo_u32 v1, v5, s22
	v_mov_b32_e32 v21, s39
	s_mov_b64 s[28:29], 0
	v_mov_b32_e32 v22, v3
	v_ashrrev_i32_e32 v2, 31, v1
	v_lshlrev_b64 v[1:2], 3, v[1:2]
	v_add_co_u32_e64 v20, s[6:7], s38, v1
	v_addc_co_u32_e64 v21, s[6:7], v21, v2, s[6:7]
	s_branch .LBB0_15
.LBB0_14:                               ;   in Loop: Header=BB0_15 Depth=4
	s_or_b64 exec, exec, s[30:31]
	v_add_u32_e32 v22, 1, v22
	v_cmp_ge_i32_e64 s[6:7], v22, v4
	s_or_b64 s[28:29], s[6:7], s[28:29]
	s_andn2_b64 exec, exec, s[28:29]
	s_cbranch_execz .LBB0_11
.LBB0_15:                               ;   Parent Loop BB0_6 Depth=1
                                        ;     Parent Loop BB0_9 Depth=2
                                        ;       Parent Loop BB0_12 Depth=3
                                        ; =>      This Loop Header: Depth=4
                                        ;           Child Loop BB0_17 Depth 5
	s_and_saveexec_b64 s[30:31], s[2:3]
	s_cbranch_execz .LBB0_14
; %bb.16:                               ;   in Loop: Header=BB0_15 Depth=4
	v_mul_lo_u32 v1, v22, s23
	s_mov_b64 s[34:35], 0
	v_mov_b32_e32 v25, v14
	v_mov_b32_e32 v26, v8
	v_ashrrev_i32_e32 v2, 31, v1
	v_lshlrev_b64 v[1:2], 3, v[1:2]
	v_add_co_u32_e64 v23, s[6:7], v20, v1
	v_addc_co_u32_e64 v24, s[6:7], v21, v2, s[6:7]
	v_mov_b32_e32 v1, v13
.LBB0_17:                               ;   Parent Loop BB0_6 Depth=1
                                        ;     Parent Loop BB0_9 Depth=2
                                        ;       Parent Loop BB0_12 Depth=3
                                        ;         Parent Loop BB0_15 Depth=4
                                        ; =>        This Inner Loop Header: Depth=5
	v_ashrrev_i32_e32 v2, 31, v1
	v_lshlrev_b64 v[27:28], 3, v[1:2]
	ds_read_b64 v[29:30], v25
	v_add_co_u32_e64 v27, s[6:7], v23, v27
	v_addc_co_u32_e64 v28, s[6:7], v24, v28, s[6:7]
	global_load_dwordx2 v[27:28], v[27:28], off
	v_add_u32_e32 v26, s42, v26
	v_cmp_le_i32_e64 s[6:7], s13, v26
	v_add_u32_e32 v1, s46, v1
	s_or_b64 s[34:35], s[6:7], s[34:35]
	s_waitcnt vmcnt(0) lgkmcnt(0)
	v_add_f64 v[27:28], v[27:28], v[29:30]
	ds_write_b64 v25, v[27:28]
	v_add_u32_e32 v25, s47, v25
	s_andn2_b64 exec, exec, s[34:35]
	s_cbranch_execnz .LBB0_17
	s_branch .LBB0_14
.LBB0_18:                               ;   in Loop: Header=BB0_9 Depth=2
	s_or_b64 exec, exec, s[20:21]
	s_and_saveexec_b64 s[20:21], s[2:3]
	s_cbranch_execz .LBB0_8
; %bb.19:                               ;   in Loop: Header=BB0_9 Depth=2
	v_sub_u32_e32 v1, v4, v3
	v_mul_lo_u32 v1, v1, v17
	v_add_u32_e32 v5, v19, v18
	s_mov_b64 s[24:25], 0
	v_cvt_f64_i32_e32 v[1:2], v1
	v_div_scale_f64 v[3:4], s[6:7], v[1:2], v[1:2], 1.0
	v_div_scale_f64 v[24:25], vcc, 1.0, v[1:2], 1.0
	v_rcp_f64_e32 v[20:21], v[3:4]
	v_fma_f64 v[22:23], -v[3:4], v[20:21], 1.0
	v_fma_f64 v[20:21], v[20:21], v[22:23], v[20:21]
	v_fma_f64 v[22:23], -v[3:4], v[20:21], 1.0
	v_fma_f64 v[20:21], v[20:21], v[22:23], v[20:21]
	v_mul_f64 v[22:23], v[24:25], v[20:21]
	v_fma_f64 v[3:4], -v[3:4], v[22:23], v[24:25]
	v_div_fmas_f64 v[3:4], v[3:4], v[20:21], v[22:23]
	v_mul_lo_u32 v20, v5, s13
	v_mov_b32_e32 v5, s37
	v_mov_b32_e32 v22, v14
	v_ashrrev_i32_e32 v21, 31, v20
	v_lshlrev_b64 v[20:21], 3, v[20:21]
	v_add_co_u32_e32 v20, vcc, s12, v20
	v_addc_co_u32_e32 v21, vcc, v5, v21, vcc
	v_div_fixup_f64 v[2:3], v[3:4], v[1:2], 1.0
	v_mov_b32_e32 v4, v8
.LBB0_20:                               ;   Parent Loop BB0_6 Depth=1
                                        ;     Parent Loop BB0_9 Depth=2
                                        ; =>    This Inner Loop Header: Depth=3
	ds_read_b64 v[23:24], v22
	v_ashrrev_i32_e32 v5, 31, v4
	v_lshlrev_b64 v[25:26], 3, v[4:5]
	v_add_u32_e32 v4, s42, v4
	v_mov_b32_e32 v1, v0
	s_waitcnt lgkmcnt(0)
	v_mul_f64 v[23:24], v[2:3], v[23:24]
	v_cmp_le_i32_e32 vcc, s13, v4
	v_add_co_u32_e64 v25, s[6:7], v20, v25
	ds_write_b64 v22, v[0:1]
	v_add_u32_e32 v22, s47, v22
	v_addc_co_u32_e64 v26, s[6:7], v21, v26, s[6:7]
	s_or_b64 s[24:25], vcc, s[24:25]
	global_store_dwordx2 v[25:26], v[23:24], off
	s_andn2_b64 exec, exec, s[24:25]
	s_cbranch_execnz .LBB0_20
	s_branch .LBB0_8
.LBB0_21:
	s_endpgm
	.section	.rodata,"a",@progbits
	.p2align	6, 0x0
	.amdhsa_kernel _ZN2at6native12_GLOBAL__N_126adaptive_average_pool_nhwcIidEEvPKT0_PS3_iiiiiiiiT_S7_S7_S7_
		.amdhsa_group_segment_fixed_size 0
		.amdhsa_private_segment_fixed_size 0
		.amdhsa_kernarg_size 320
		.amdhsa_user_sgpr_count 6
		.amdhsa_user_sgpr_private_segment_buffer 1
		.amdhsa_user_sgpr_dispatch_ptr 0
		.amdhsa_user_sgpr_queue_ptr 0
		.amdhsa_user_sgpr_kernarg_segment_ptr 1
		.amdhsa_user_sgpr_dispatch_id 0
		.amdhsa_user_sgpr_flat_scratch_init 0
		.amdhsa_user_sgpr_private_segment_size 0
		.amdhsa_uses_dynamic_stack 0
		.amdhsa_system_sgpr_private_segment_wavefront_offset 0
		.amdhsa_system_sgpr_workgroup_id_x 1
		.amdhsa_system_sgpr_workgroup_id_y 1
		.amdhsa_system_sgpr_workgroup_id_z 1
		.amdhsa_system_sgpr_workgroup_info 0
		.amdhsa_system_vgpr_workitem_id 2
		.amdhsa_next_free_vgpr 31
		.amdhsa_next_free_sgpr 48
		.amdhsa_reserve_vcc 1
		.amdhsa_reserve_flat_scratch 0
		.amdhsa_float_round_mode_32 0
		.amdhsa_float_round_mode_16_64 0
		.amdhsa_float_denorm_mode_32 3
		.amdhsa_float_denorm_mode_16_64 3
		.amdhsa_dx10_clamp 1
		.amdhsa_ieee_mode 1
		.amdhsa_fp16_overflow 0
		.amdhsa_exception_fp_ieee_invalid_op 0
		.amdhsa_exception_fp_denorm_src 0
		.amdhsa_exception_fp_ieee_div_zero 0
		.amdhsa_exception_fp_ieee_overflow 0
		.amdhsa_exception_fp_ieee_underflow 0
		.amdhsa_exception_fp_ieee_inexact 0
		.amdhsa_exception_int_div_zero 0
	.end_amdhsa_kernel
	.section	.text._ZN2at6native12_GLOBAL__N_126adaptive_average_pool_nhwcIidEEvPKT0_PS3_iiiiiiiiT_S7_S7_S7_,"axG",@progbits,_ZN2at6native12_GLOBAL__N_126adaptive_average_pool_nhwcIidEEvPKT0_PS3_iiiiiiiiT_S7_S7_S7_,comdat
.Lfunc_end0:
	.size	_ZN2at6native12_GLOBAL__N_126adaptive_average_pool_nhwcIidEEvPKT0_PS3_iiiiiiiiT_S7_S7_S7_, .Lfunc_end0-_ZN2at6native12_GLOBAL__N_126adaptive_average_pool_nhwcIidEEvPKT0_PS3_iiiiiiiiT_S7_S7_S7_
                                        ; -- End function
	.set _ZN2at6native12_GLOBAL__N_126adaptive_average_pool_nhwcIidEEvPKT0_PS3_iiiiiiiiT_S7_S7_S7_.num_vgpr, 31
	.set _ZN2at6native12_GLOBAL__N_126adaptive_average_pool_nhwcIidEEvPKT0_PS3_iiiiiiiiT_S7_S7_S7_.num_agpr, 0
	.set _ZN2at6native12_GLOBAL__N_126adaptive_average_pool_nhwcIidEEvPKT0_PS3_iiiiiiiiT_S7_S7_S7_.numbered_sgpr, 48
	.set _ZN2at6native12_GLOBAL__N_126adaptive_average_pool_nhwcIidEEvPKT0_PS3_iiiiiiiiT_S7_S7_S7_.num_named_barrier, 0
	.set _ZN2at6native12_GLOBAL__N_126adaptive_average_pool_nhwcIidEEvPKT0_PS3_iiiiiiiiT_S7_S7_S7_.private_seg_size, 0
	.set _ZN2at6native12_GLOBAL__N_126adaptive_average_pool_nhwcIidEEvPKT0_PS3_iiiiiiiiT_S7_S7_S7_.uses_vcc, 1
	.set _ZN2at6native12_GLOBAL__N_126adaptive_average_pool_nhwcIidEEvPKT0_PS3_iiiiiiiiT_S7_S7_S7_.uses_flat_scratch, 0
	.set _ZN2at6native12_GLOBAL__N_126adaptive_average_pool_nhwcIidEEvPKT0_PS3_iiiiiiiiT_S7_S7_S7_.has_dyn_sized_stack, 0
	.set _ZN2at6native12_GLOBAL__N_126adaptive_average_pool_nhwcIidEEvPKT0_PS3_iiiiiiiiT_S7_S7_S7_.has_recursion, 0
	.set _ZN2at6native12_GLOBAL__N_126adaptive_average_pool_nhwcIidEEvPKT0_PS3_iiiiiiiiT_S7_S7_S7_.has_indirect_call, 0
	.section	.AMDGPU.csdata,"",@progbits
; Kernel info:
; codeLenInByte = 1716
; TotalNumSgprs: 52
; NumVgprs: 31
; ScratchSize: 0
; MemoryBound: 0
; FloatMode: 240
; IeeeMode: 1
; LDSByteSize: 0 bytes/workgroup (compile time only)
; SGPRBlocks: 6
; VGPRBlocks: 7
; NumSGPRsForWavesPerEU: 52
; NumVGPRsForWavesPerEU: 31
; Occupancy: 8
; WaveLimiterHint : 0
; COMPUTE_PGM_RSRC2:SCRATCH_EN: 0
; COMPUTE_PGM_RSRC2:USER_SGPR: 6
; COMPUTE_PGM_RSRC2:TRAP_HANDLER: 0
; COMPUTE_PGM_RSRC2:TGID_X_EN: 1
; COMPUTE_PGM_RSRC2:TGID_Y_EN: 1
; COMPUTE_PGM_RSRC2:TGID_Z_EN: 1
; COMPUTE_PGM_RSRC2:TIDIG_COMP_CNT: 2
	.section	.text._ZN2at6native12_GLOBAL__N_126adaptive_average_pool_nhwcIifEEvPKT0_PS3_iiiiiiiiT_S7_S7_S7_,"axG",@progbits,_ZN2at6native12_GLOBAL__N_126adaptive_average_pool_nhwcIifEEvPKT0_PS3_iiiiiiiiT_S7_S7_S7_,comdat
	.globl	_ZN2at6native12_GLOBAL__N_126adaptive_average_pool_nhwcIifEEvPKT0_PS3_iiiiiiiiT_S7_S7_S7_ ; -- Begin function _ZN2at6native12_GLOBAL__N_126adaptive_average_pool_nhwcIifEEvPKT0_PS3_iiiiiiiiT_S7_S7_S7_
	.p2align	8
	.type	_ZN2at6native12_GLOBAL__N_126adaptive_average_pool_nhwcIifEEvPKT0_PS3_iiiiiiiiT_S7_S7_S7_,@function
_ZN2at6native12_GLOBAL__N_126adaptive_average_pool_nhwcIifEEvPKT0_PS3_iiiiiiiiT_S7_S7_S7_: ; @_ZN2at6native12_GLOBAL__N_126adaptive_average_pool_nhwcIifEEvPKT0_PS3_iiiiiiiiT_S7_S7_S7_
; %bb.0:
	s_load_dwordx4 s[0:3], s[4:5], 0x44
	s_load_dwordx4 s[20:23], s[4:5], 0x30
	;; [unrolled: 1-line block ×3, first 2 shown]
	s_load_dwordx8 s[12:19], s[4:5], 0x10
	s_waitcnt lgkmcnt(0)
	s_lshr_b32 s36, s2, 16
	s_and_b32 s9, s2, 0xffff
	v_mad_u32_u24 v8, v2, s36, v1
	s_and_b32 s33, s3, 0xffff
	v_mad_u64_u32 v[3:4], s[2:3], v8, s9, v[0:1]
	s_mul_i32 s2, s19, s9
	s_mul_i32 s10, s2, s36
	;; [unrolled: 1-line block ×3, first 2 shown]
	v_cmp_gt_u32_e32 vcc, s10, v3
	s_and_saveexec_b64 s[2:3], vcc
	s_cbranch_execz .LBB1_3
; %bb.1:
	s_mul_i32 s11, s36, s9
	s_mul_i32 s11, s11, s33
	v_lshl_add_u32 v4, v3, 2, 0
	s_lshl_b32 s28, s11, 2
	s_mov_b64 s[4:5], 0
	v_mov_b32_e32 v5, 0
.LBB1_2:                                ; =>This Inner Loop Header: Depth=1
	v_add_u32_e32 v3, s11, v3
	v_cmp_le_u32_e32 vcc, s10, v3
	ds_write_b32 v4, v5
	s_or_b64 s[4:5], vcc, s[4:5]
	v_add_u32_e32 v4, s28, v4
	s_andn2_b64 exec, exec, s[4:5]
	s_cbranch_execnz .LBB1_2
.LBB1_3:
	s_or_b64 exec, exec, s[2:3]
	v_cvt_f32_u32_e32 v4, s1
	v_cvt_f32_u32_e32 v3, s12
	s_sub_i32 s5, 0, s1
	s_add_i32 s4, s16, -1
	v_rcp_iflag_f32_e32 v4, v4
	v_rcp_iflag_f32_e32 v3, v3
	s_add_i32 s3, s4, s1
	s_waitcnt lgkmcnt(0)
	v_mul_f32_e32 v4, 0x4f7ffffe, v4
	v_cvt_u32_f32_e32 v4, v4
	v_mul_f32_e32 v3, 0x4f7ffffe, v3
	v_cvt_u32_f32_e32 v3, v3
	s_barrier
	v_readfirstlane_b32 s10, v4
	s_mul_i32 s5, s5, s10
	v_readfirstlane_b32 s2, v3
	s_mul_hi_u32 s5, s10, s5
	v_cvt_f32_u32_e32 v3, s0
	s_add_i32 s10, s10, s5
	s_mul_hi_u32 s5, s3, s10
	s_mul_i32 s10, s5, s1
	s_sub_i32 s3, s3, s10
	v_rcp_iflag_f32_e32 v3, v3
	s_add_i32 s10, s5, 1
	s_sub_i32 s11, s3, s1
	s_cmp_ge_u32 s3, s1
	s_cselect_b32 s5, s10, s5
	s_cselect_b32 s3, s11, s3
	v_mul_f32_e32 v3, 0x4f7ffffe, v3
	s_add_i32 s10, s5, 1
	v_cvt_u32_f32_e32 v3, v3
	s_cmp_ge_u32 s3, s1
	s_cselect_b32 s3, s10, s5
	s_mul_i32 s5, s3, s8
	v_add_u32_e32 v2, s5, v2
	v_readfirstlane_b32 s1, v3
	v_add_u32_e32 v3, s3, v2
	v_min_i32_e32 v3, s16, v3
	v_cmp_lt_i32_e32 vcc, v2, v3
	s_and_saveexec_b64 s[10:11], vcc
	s_cbranch_execz .LBB1_21
; %bb.4:
	s_sub_i32 s3, 0, s12
	s_mul_i32 s3, s3, s2
	s_mul_hi_u32 s3, s2, s3
	s_add_i32 s2, s2, s3
	s_sub_i32 s3, 0, s0
	s_mul_i32 s3, s3, s1
	s_mul_hi_u32 s2, s6, s2
	s_mul_hi_u32 s3, s1, s3
	s_add_i32 s1, s1, s3
	s_mul_i32 s3, s2, s12
	s_add_i32 s5, s17, -1
	s_sub_i32 s3, s6, s3
	s_add_i32 s8, s5, s0
	s_add_i32 s10, s2, 1
	s_sub_i32 s11, s3, s12
	s_cmp_ge_u32 s3, s12
	s_cselect_b32 s2, s10, s2
	s_cselect_b32 s3, s11, s3
	s_add_i32 s10, s2, 1
	s_cmp_ge_u32 s3, s12
	s_cselect_b32 s2, s10, s2
	s_mul_i32 s3, s2, s12
	s_mul_i32 s2, s2, s9
	v_add_u32_e32 v4, s2, v0
	s_mul_i32 s2, s16, s13
	s_sub_i32 s6, s6, s3
	s_mul_i32 s2, s2, s17
	s_mul_i32 s2, s2, s6
	s_ashr_i32 s3, s2, 31
	s_lshl_b64 s[2:3], s[2:3], 2
	s_add_u32 s12, s26, s2
	s_mul_i32 s2, s6, s20
	s_addc_u32 s37, s27, s3
	s_ashr_i32 s3, s2, 31
	s_mul_hi_u32 s1, s8, s1
	s_lshl_b64 s[2:3], s[2:3], 2
	s_add_u32 s38, s24, s2
	s_mul_i32 s2, s1, s0
	s_addc_u32 s39, s25, s3
	s_sub_i32 s2, s8, s2
	s_add_i32 s3, s1, 1
	s_sub_i32 s6, s2, s0
	s_cmp_ge_u32 s2, s0
	s_cselect_b32 s1, s3, s1
	s_cselect_b32 s2, s6, s2
	s_add_i32 s3, s1, 1
	s_cmp_ge_u32 s2, s0
	s_cselect_b32 s0, s3, s1
	s_abs_i32 s40, s16
	v_cvt_f32_u32_e32 v6, s40
	s_abs_i32 s41, s17
	v_cvt_f32_u32_e32 v9, s41
	s_mul_i32 s1, s0, s7
	v_rcp_iflag_f32_e32 v7, v6
	v_add_u32_e32 v5, s1, v1
	v_add_u32_e32 v1, s0, v5
	v_min_i32_e32 v6, s17, v1
	v_mul_f32_e32 v1, 0x4f7ffffe, v7
	v_rcp_iflag_f32_e32 v7, v9
	v_cvt_u32_f32_e32 v1, v1
	s_sub_i32 s2, 0, s40
	s_sub_i32 s6, 0, s41
	v_mul_f32_e32 v7, 0x4f7ffffe, v7
	v_mul_lo_u32 v9, s2, v1
	v_cvt_u32_f32_e32 v10, v7
	s_mul_i32 s42, s18, s9
	v_lshlrev_b32_e32 v0, 2, v0
	v_mul_hi_u32 v7, v1, v9
	v_mul_lo_u32 v9, s6, v10
	v_cmp_lt_i32_e64 s[0:1], v5, v6
	v_cmp_gt_i32_e64 s[2:3], s13, v4
	v_add_u32_e32 v7, v1, v7
	v_mul_hi_u32 v1, v10, v9
	v_mul_lo_u32 v9, s19, v8
	s_ashr_i32 s16, s16, 31
	s_add_i32 s43, s14, s4
	v_add_u32_e32 v8, v10, v1
	v_mul_lo_u32 v1, v9, s9
	v_mul_lo_u32 v9, s21, v4
	s_ashr_i32 s44, s17, 31
	s_add_i32 s45, s15, s5
	v_lshlrev_b32_e32 v1, 2, v1
	s_mul_i32 s46, s42, s21
	v_add3_u32 v10, v1, v0, 0
	s_lshl_b32 s47, s9, 2
	s_mov_b64 s[8:9], 0
	s_branch .LBB1_6
.LBB1_5:                                ;   in Loop: Header=BB1_6 Depth=1
	s_or_b64 exec, exec, s[10:11]
	v_add_u32_e32 v2, s33, v2
	v_cmp_ge_i32_e32 vcc, v2, v3
	s_or_b64 s[8:9], vcc, s[8:9]
	s_andn2_b64 exec, exec, s[8:9]
	s_cbranch_execz .LBB1_21
.LBB1_6:                                ; =>This Loop Header: Depth=1
                                        ;     Child Loop BB1_9 Depth 2
                                        ;       Child Loop BB1_12 Depth 3
                                        ;         Child Loop BB1_15 Depth 4
                                        ;           Child Loop BB1_17 Depth 5
                                        ;       Child Loop BB1_20 Depth 3
	s_and_saveexec_b64 s[10:11], s[0:1]
	s_cbranch_execz .LBB1_5
; %bb.7:                                ;   in Loop: Header=BB1_6 Depth=1
	v_mul_lo_u32 v0, v2, s14
	s_mov_b64 s[18:19], 0
	v_sub_u32_e32 v1, 0, v0
	v_max_i32_e32 v1, v0, v1
	v_mul_hi_u32 v11, v1, v7
	v_ashrrev_i32_e32 v12, 31, v0
	v_add_u32_e32 v0, s43, v0
	v_sub_u32_e32 v14, 0, v0
	v_mul_lo_u32 v13, v11, s40
	v_max_i32_e32 v14, v0, v14
	v_add_u32_e32 v15, 1, v11
	v_xor_b32_e32 v12, s16, v12
	v_sub_u32_e32 v1, v1, v13
	v_cmp_le_u32_e32 vcc, s40, v1
	v_cndmask_b32_e32 v11, v11, v15, vcc
	v_mul_hi_u32 v15, v14, v7
	v_subrev_u32_e32 v13, s40, v1
	v_cndmask_b32_e32 v1, v1, v13, vcc
	v_add_u32_e32 v13, 1, v11
	v_cmp_le_u32_e32 vcc, s40, v1
	v_cndmask_b32_e32 v1, v11, v13, vcc
	v_mul_lo_u32 v13, v15, s40
	v_xor_b32_e32 v1, v1, v12
	v_sub_u32_e32 v11, v1, v12
	v_add_u32_e32 v12, 1, v15
	v_sub_u32_e32 v1, v14, v13
	v_cmp_le_u32_e32 vcc, s40, v1
	v_subrev_u32_e32 v13, s40, v1
	v_cndmask_b32_e32 v12, v15, v12, vcc
	v_cndmask_b32_e32 v1, v1, v13, vcc
	v_ashrrev_i32_e32 v0, 31, v0
	v_add_u32_e32 v13, 1, v12
	v_cmp_le_u32_e32 vcc, s40, v1
	v_xor_b32_e32 v0, s16, v0
	v_cndmask_b32_e32 v1, v12, v13, vcc
	v_mul_lo_u32 v14, v2, s17
	v_xor_b32_e32 v1, v1, v0
	v_sub_u32_e32 v12, v1, v0
	v_sub_u32_e32 v13, v12, v11
	v_cmp_gt_i32_e64 s[4:5], v12, v11
	v_mov_b32_e32 v15, v5
	s_branch .LBB1_9
.LBB1_8:                                ;   in Loop: Header=BB1_9 Depth=2
	s_or_b64 exec, exec, s[20:21]
	v_add_u32_e32 v15, s36, v15
	v_cmp_ge_i32_e32 vcc, v15, v6
	s_or_b64 s[18:19], vcc, s[18:19]
	s_andn2_b64 exec, exec, s[18:19]
	s_cbranch_execz .LBB1_5
.LBB1_9:                                ;   Parent Loop BB1_6 Depth=1
                                        ; =>  This Loop Header: Depth=2
                                        ;       Child Loop BB1_12 Depth 3
                                        ;         Child Loop BB1_15 Depth 4
                                        ;           Child Loop BB1_17 Depth 5
                                        ;       Child Loop BB1_20 Depth 3
	v_mul_lo_u32 v0, v15, s15
	v_sub_u32_e32 v1, 0, v0
	v_max_i32_e32 v1, v0, v1
	v_mul_hi_u32 v16, v1, v8
	v_ashrrev_i32_e32 v17, 31, v0
	v_add_u32_e32 v0, s45, v0
	v_sub_u32_e32 v19, 0, v0
	v_mul_lo_u32 v18, v16, s41
	v_max_i32_e32 v19, v0, v19
	v_add_u32_e32 v20, 1, v16
	v_xor_b32_e32 v17, s44, v17
	v_sub_u32_e32 v1, v1, v18
	v_cmp_le_u32_e32 vcc, s41, v1
	v_cndmask_b32_e32 v16, v16, v20, vcc
	v_mul_hi_u32 v20, v19, v8
	v_subrev_u32_e32 v18, s41, v1
	v_cndmask_b32_e32 v1, v1, v18, vcc
	v_add_u32_e32 v18, 1, v16
	v_cmp_le_u32_e32 vcc, s41, v1
	v_cndmask_b32_e32 v1, v16, v18, vcc
	v_mul_lo_u32 v18, v20, s41
	v_xor_b32_e32 v1, v1, v17
	v_sub_u32_e32 v16, v1, v17
	v_add_u32_e32 v17, 1, v20
	v_sub_u32_e32 v1, v19, v18
	v_cmp_le_u32_e32 vcc, s41, v1
	v_subrev_u32_e32 v18, s41, v1
	v_cndmask_b32_e32 v17, v20, v17, vcc
	v_cndmask_b32_e32 v1, v1, v18, vcc
	v_ashrrev_i32_e32 v0, 31, v0
	v_add_u32_e32 v18, 1, v17
	v_cmp_le_u32_e32 vcc, s41, v1
	v_xor_b32_e32 v0, s44, v0
	v_cndmask_b32_e32 v1, v17, v18, vcc
	v_xor_b32_e32 v1, v1, v0
	v_sub_u32_e32 v17, v1, v0
	s_and_saveexec_b64 s[20:21], s[4:5]
	s_cbranch_execz .LBB1_18
; %bb.10:                               ;   in Loop: Header=BB1_9 Depth=2
	v_cmp_gt_i32_e32 vcc, v17, v16
	s_mov_b64 s[24:25], 0
	v_mov_b32_e32 v18, v11
	s_branch .LBB1_12
.LBB1_11:                               ;   in Loop: Header=BB1_12 Depth=3
	s_or_b64 exec, exec, s[26:27]
	v_add_u32_e32 v18, 1, v18
	v_cmp_ge_i32_e64 s[6:7], v18, v12
	s_or_b64 s[24:25], s[6:7], s[24:25]
	s_andn2_b64 exec, exec, s[24:25]
	s_cbranch_execz .LBB1_18
.LBB1_12:                               ;   Parent Loop BB1_6 Depth=1
                                        ;     Parent Loop BB1_9 Depth=2
                                        ; =>    This Loop Header: Depth=3
                                        ;         Child Loop BB1_15 Depth 4
                                        ;           Child Loop BB1_17 Depth 5
	s_and_saveexec_b64 s[26:27], vcc
	s_cbranch_execz .LBB1_11
; %bb.13:                               ;   in Loop: Header=BB1_12 Depth=3
	v_mul_lo_u32 v0, v18, s22
	v_mov_b32_e32 v20, s39
	s_mov_b64 s[28:29], 0
	v_mov_b32_e32 v21, v16
	v_ashrrev_i32_e32 v1, 31, v0
	v_lshlrev_b64 v[0:1], 2, v[0:1]
	v_add_co_u32_e64 v19, s[6:7], s38, v0
	v_addc_co_u32_e64 v20, s[6:7], v20, v1, s[6:7]
	s_branch .LBB1_15
.LBB1_14:                               ;   in Loop: Header=BB1_15 Depth=4
	s_or_b64 exec, exec, s[30:31]
	v_add_u32_e32 v21, 1, v21
	v_cmp_ge_i32_e64 s[6:7], v21, v17
	s_or_b64 s[28:29], s[6:7], s[28:29]
	s_andn2_b64 exec, exec, s[28:29]
	s_cbranch_execz .LBB1_11
.LBB1_15:                               ;   Parent Loop BB1_6 Depth=1
                                        ;     Parent Loop BB1_9 Depth=2
                                        ;       Parent Loop BB1_12 Depth=3
                                        ; =>      This Loop Header: Depth=4
                                        ;           Child Loop BB1_17 Depth 5
	s_and_saveexec_b64 s[30:31], s[2:3]
	s_cbranch_execz .LBB1_14
; %bb.16:                               ;   in Loop: Header=BB1_15 Depth=4
	v_mul_lo_u32 v0, v21, s23
	s_mov_b64 s[34:35], 0
	v_mov_b32_e32 v24, v10
	v_mov_b32_e32 v25, v4
	v_ashrrev_i32_e32 v1, 31, v0
	v_lshlrev_b64 v[0:1], 2, v[0:1]
	v_add_co_u32_e64 v22, s[6:7], v19, v0
	v_addc_co_u32_e64 v23, s[6:7], v20, v1, s[6:7]
	v_mov_b32_e32 v0, v9
.LBB1_17:                               ;   Parent Loop BB1_6 Depth=1
                                        ;     Parent Loop BB1_9 Depth=2
                                        ;       Parent Loop BB1_12 Depth=3
                                        ;         Parent Loop BB1_15 Depth=4
                                        ; =>        This Inner Loop Header: Depth=5
	v_ashrrev_i32_e32 v1, 31, v0
	v_lshlrev_b64 v[26:27], 2, v[0:1]
	v_add_u32_e32 v25, s42, v25
	v_add_co_u32_e64 v26, s[6:7], v22, v26
	v_addc_co_u32_e64 v27, s[6:7], v23, v27, s[6:7]
	global_load_dword v1, v[26:27], off
	ds_read_b32 v26, v24
	v_cmp_le_i32_e64 s[6:7], s13, v25
	v_add_u32_e32 v0, s46, v0
	s_or_b64 s[34:35], s[6:7], s[34:35]
	s_waitcnt vmcnt(0) lgkmcnt(0)
	v_add_f32_e32 v1, v1, v26
	ds_write_b32 v24, v1
	v_add_u32_e32 v24, s47, v24
	s_andn2_b64 exec, exec, s[34:35]
	s_cbranch_execnz .LBB1_17
	s_branch .LBB1_14
.LBB1_18:                               ;   in Loop: Header=BB1_9 Depth=2
	s_or_b64 exec, exec, s[20:21]
	s_and_saveexec_b64 s[20:21], s[2:3]
	s_cbranch_execz .LBB1_8
; %bb.19:                               ;   in Loop: Header=BB1_9 Depth=2
	v_sub_u32_e32 v0, v17, v16
	v_mul_lo_u32 v0, v0, v13
	s_mov_b64 s[24:25], 0
	v_cvt_f32_i32_e32 v19, v0
	v_div_scale_f32 v0, s[6:7], v19, v19, 1.0
	v_div_scale_f32 v1, vcc, 1.0, v19, 1.0
	v_rcp_f32_e32 v16, v0
	v_fma_f32 v17, -v0, v16, 1.0
	v_fmac_f32_e32 v16, v17, v16
	v_mul_f32_e32 v17, v1, v16
	v_fma_f32 v18, -v0, v17, v1
	v_fmac_f32_e32 v17, v18, v16
	v_fma_f32 v0, -v0, v17, v1
	v_div_fmas_f32 v20, v0, v16, v17
	v_add_u32_e32 v0, v15, v14
	v_mul_lo_u32 v0, v0, s13
	v_mov_b32_e32 v18, s37
	v_mov_b32_e32 v16, v10
	v_ashrrev_i32_e32 v1, 31, v0
	v_lshlrev_b64 v[0:1], 2, v[0:1]
	v_add_co_u32_e32 v17, vcc, s12, v0
	v_addc_co_u32_e32 v18, vcc, v18, v1, vcc
	v_mov_b32_e32 v0, v4
	v_div_fixup_f32 v19, v20, v19, 1.0
.LBB1_20:                               ;   Parent Loop BB1_6 Depth=1
                                        ;     Parent Loop BB1_9 Depth=2
                                        ; =>    This Inner Loop Header: Depth=3
	ds_read_b32 v22, v16
	v_ashrrev_i32_e32 v1, 31, v0
	v_mov_b32_e32 v20, 0
	ds_write_b32 v16, v20
	v_lshlrev_b64 v[20:21], 2, v[0:1]
	v_add_u32_e32 v0, s42, v0
	v_cmp_le_i32_e32 vcc, s13, v0
	v_add_co_u32_e64 v20, s[6:7], v17, v20
	v_add_u32_e32 v16, s47, v16
	v_addc_co_u32_e64 v21, s[6:7], v18, v21, s[6:7]
	s_or_b64 s[24:25], vcc, s[24:25]
	s_waitcnt lgkmcnt(1)
	v_mul_f32_e32 v1, v19, v22
	global_store_dword v[20:21], v1, off
	s_andn2_b64 exec, exec, s[24:25]
	s_cbranch_execnz .LBB1_20
	s_branch .LBB1_8
.LBB1_21:
	s_endpgm
	.section	.rodata,"a",@progbits
	.p2align	6, 0x0
	.amdhsa_kernel _ZN2at6native12_GLOBAL__N_126adaptive_average_pool_nhwcIifEEvPKT0_PS3_iiiiiiiiT_S7_S7_S7_
		.amdhsa_group_segment_fixed_size 0
		.amdhsa_private_segment_fixed_size 0
		.amdhsa_kernarg_size 320
		.amdhsa_user_sgpr_count 6
		.amdhsa_user_sgpr_private_segment_buffer 1
		.amdhsa_user_sgpr_dispatch_ptr 0
		.amdhsa_user_sgpr_queue_ptr 0
		.amdhsa_user_sgpr_kernarg_segment_ptr 1
		.amdhsa_user_sgpr_dispatch_id 0
		.amdhsa_user_sgpr_flat_scratch_init 0
		.amdhsa_user_sgpr_private_segment_size 0
		.amdhsa_uses_dynamic_stack 0
		.amdhsa_system_sgpr_private_segment_wavefront_offset 0
		.amdhsa_system_sgpr_workgroup_id_x 1
		.amdhsa_system_sgpr_workgroup_id_y 1
		.amdhsa_system_sgpr_workgroup_id_z 1
		.amdhsa_system_sgpr_workgroup_info 0
		.amdhsa_system_vgpr_workitem_id 2
		.amdhsa_next_free_vgpr 28
		.amdhsa_next_free_sgpr 48
		.amdhsa_reserve_vcc 1
		.amdhsa_reserve_flat_scratch 0
		.amdhsa_float_round_mode_32 0
		.amdhsa_float_round_mode_16_64 0
		.amdhsa_float_denorm_mode_32 3
		.amdhsa_float_denorm_mode_16_64 3
		.amdhsa_dx10_clamp 1
		.amdhsa_ieee_mode 1
		.amdhsa_fp16_overflow 0
		.amdhsa_exception_fp_ieee_invalid_op 0
		.amdhsa_exception_fp_denorm_src 0
		.amdhsa_exception_fp_ieee_div_zero 0
		.amdhsa_exception_fp_ieee_overflow 0
		.amdhsa_exception_fp_ieee_underflow 0
		.amdhsa_exception_fp_ieee_inexact 0
		.amdhsa_exception_int_div_zero 0
	.end_amdhsa_kernel
	.section	.text._ZN2at6native12_GLOBAL__N_126adaptive_average_pool_nhwcIifEEvPKT0_PS3_iiiiiiiiT_S7_S7_S7_,"axG",@progbits,_ZN2at6native12_GLOBAL__N_126adaptive_average_pool_nhwcIifEEvPKT0_PS3_iiiiiiiiT_S7_S7_S7_,comdat
.Lfunc_end1:
	.size	_ZN2at6native12_GLOBAL__N_126adaptive_average_pool_nhwcIifEEvPKT0_PS3_iiiiiiiiT_S7_S7_S7_, .Lfunc_end1-_ZN2at6native12_GLOBAL__N_126adaptive_average_pool_nhwcIifEEvPKT0_PS3_iiiiiiiiT_S7_S7_S7_
                                        ; -- End function
	.set _ZN2at6native12_GLOBAL__N_126adaptive_average_pool_nhwcIifEEvPKT0_PS3_iiiiiiiiT_S7_S7_S7_.num_vgpr, 28
	.set _ZN2at6native12_GLOBAL__N_126adaptive_average_pool_nhwcIifEEvPKT0_PS3_iiiiiiiiT_S7_S7_S7_.num_agpr, 0
	.set _ZN2at6native12_GLOBAL__N_126adaptive_average_pool_nhwcIifEEvPKT0_PS3_iiiiiiiiT_S7_S7_S7_.numbered_sgpr, 48
	.set _ZN2at6native12_GLOBAL__N_126adaptive_average_pool_nhwcIifEEvPKT0_PS3_iiiiiiiiT_S7_S7_S7_.num_named_barrier, 0
	.set _ZN2at6native12_GLOBAL__N_126adaptive_average_pool_nhwcIifEEvPKT0_PS3_iiiiiiiiT_S7_S7_S7_.private_seg_size, 0
	.set _ZN2at6native12_GLOBAL__N_126adaptive_average_pool_nhwcIifEEvPKT0_PS3_iiiiiiiiT_S7_S7_S7_.uses_vcc, 1
	.set _ZN2at6native12_GLOBAL__N_126adaptive_average_pool_nhwcIifEEvPKT0_PS3_iiiiiiiiT_S7_S7_S7_.uses_flat_scratch, 0
	.set _ZN2at6native12_GLOBAL__N_126adaptive_average_pool_nhwcIifEEvPKT0_PS3_iiiiiiiiT_S7_S7_S7_.has_dyn_sized_stack, 0
	.set _ZN2at6native12_GLOBAL__N_126adaptive_average_pool_nhwcIifEEvPKT0_PS3_iiiiiiiiT_S7_S7_S7_.has_recursion, 0
	.set _ZN2at6native12_GLOBAL__N_126adaptive_average_pool_nhwcIifEEvPKT0_PS3_iiiiiiiiT_S7_S7_S7_.has_indirect_call, 0
	.section	.AMDGPU.csdata,"",@progbits
; Kernel info:
; codeLenInByte = 1688
; TotalNumSgprs: 52
; NumVgprs: 28
; ScratchSize: 0
; MemoryBound: 0
; FloatMode: 240
; IeeeMode: 1
; LDSByteSize: 0 bytes/workgroup (compile time only)
; SGPRBlocks: 6
; VGPRBlocks: 6
; NumSGPRsForWavesPerEU: 52
; NumVGPRsForWavesPerEU: 28
; Occupancy: 9
; WaveLimiterHint : 0
; COMPUTE_PGM_RSRC2:SCRATCH_EN: 0
; COMPUTE_PGM_RSRC2:USER_SGPR: 6
; COMPUTE_PGM_RSRC2:TRAP_HANDLER: 0
; COMPUTE_PGM_RSRC2:TGID_X_EN: 1
; COMPUTE_PGM_RSRC2:TGID_Y_EN: 1
; COMPUTE_PGM_RSRC2:TGID_Z_EN: 1
; COMPUTE_PGM_RSRC2:TIDIG_COMP_CNT: 2
	.section	.text._ZN2at6native12_GLOBAL__N_126adaptive_average_pool_nhwcIiN3c104HalfEEEvPKT0_PS5_iiiiiiiiT_S9_S9_S9_,"axG",@progbits,_ZN2at6native12_GLOBAL__N_126adaptive_average_pool_nhwcIiN3c104HalfEEEvPKT0_PS5_iiiiiiiiT_S9_S9_S9_,comdat
	.globl	_ZN2at6native12_GLOBAL__N_126adaptive_average_pool_nhwcIiN3c104HalfEEEvPKT0_PS5_iiiiiiiiT_S9_S9_S9_ ; -- Begin function _ZN2at6native12_GLOBAL__N_126adaptive_average_pool_nhwcIiN3c104HalfEEEvPKT0_PS5_iiiiiiiiT_S9_S9_S9_
	.p2align	8
	.type	_ZN2at6native12_GLOBAL__N_126adaptive_average_pool_nhwcIiN3c104HalfEEEvPKT0_PS5_iiiiiiiiT_S9_S9_S9_,@function
_ZN2at6native12_GLOBAL__N_126adaptive_average_pool_nhwcIiN3c104HalfEEEvPKT0_PS5_iiiiiiiiT_S9_S9_S9_: ; @_ZN2at6native12_GLOBAL__N_126adaptive_average_pool_nhwcIiN3c104HalfEEEvPKT0_PS5_iiiiiiiiT_S9_S9_S9_
; %bb.0:
	s_load_dwordx4 s[0:3], s[4:5], 0x44
	s_load_dwordx4 s[20:23], s[4:5], 0x30
	;; [unrolled: 1-line block ×3, first 2 shown]
	s_load_dwordx8 s[12:19], s[4:5], 0x10
	s_waitcnt lgkmcnt(0)
	s_lshr_b32 s36, s2, 16
	s_and_b32 s9, s2, 0xffff
	v_mad_u32_u24 v8, v2, s36, v1
	s_and_b32 s33, s3, 0xffff
	v_mad_u64_u32 v[3:4], s[2:3], v8, s9, v[0:1]
	s_mul_i32 s2, s19, s9
	s_mul_i32 s10, s2, s36
	;; [unrolled: 1-line block ×3, first 2 shown]
	v_cmp_gt_u32_e32 vcc, s10, v3
	s_and_saveexec_b64 s[2:3], vcc
	s_cbranch_execz .LBB2_3
; %bb.1:
	s_mul_i32 s11, s36, s9
	s_mul_i32 s11, s11, s33
	v_lshl_add_u32 v4, v3, 2, 0
	s_lshl_b32 s28, s11, 2
	s_mov_b64 s[4:5], 0
	v_mov_b32_e32 v5, 0
.LBB2_2:                                ; =>This Inner Loop Header: Depth=1
	v_add_u32_e32 v3, s11, v3
	v_cmp_le_u32_e32 vcc, s10, v3
	ds_write_b32 v4, v5
	s_or_b64 s[4:5], vcc, s[4:5]
	v_add_u32_e32 v4, s28, v4
	s_andn2_b64 exec, exec, s[4:5]
	s_cbranch_execnz .LBB2_2
.LBB2_3:
	s_or_b64 exec, exec, s[2:3]
	v_cvt_f32_u32_e32 v4, s1
	v_cvt_f32_u32_e32 v3, s12
	s_sub_i32 s5, 0, s1
	s_add_i32 s2, s16, -1
	v_rcp_iflag_f32_e32 v4, v4
	v_rcp_iflag_f32_e32 v3, v3
	s_add_i32 s4, s2, s1
	s_waitcnt lgkmcnt(0)
	v_mul_f32_e32 v4, 0x4f7ffffe, v4
	v_cvt_u32_f32_e32 v4, v4
	v_mul_f32_e32 v3, 0x4f7ffffe, v3
	v_cvt_u32_f32_e32 v3, v3
	s_barrier
	v_readfirstlane_b32 s10, v4
	s_mul_i32 s5, s5, s10
	v_readfirstlane_b32 s3, v3
	s_mul_hi_u32 s5, s10, s5
	v_cvt_f32_u32_e32 v3, s0
	s_add_i32 s10, s10, s5
	s_mul_hi_u32 s5, s4, s10
	s_mul_i32 s10, s5, s1
	s_sub_i32 s4, s4, s10
	v_rcp_iflag_f32_e32 v3, v3
	s_add_i32 s10, s5, 1
	s_sub_i32 s11, s4, s1
	s_cmp_ge_u32 s4, s1
	s_cselect_b32 s5, s10, s5
	s_cselect_b32 s4, s11, s4
	v_mul_f32_e32 v3, 0x4f7ffffe, v3
	s_add_i32 s10, s5, 1
	v_cvt_u32_f32_e32 v3, v3
	s_cmp_ge_u32 s4, s1
	s_cselect_b32 s4, s10, s5
	s_mul_i32 s5, s4, s8
	v_add_u32_e32 v2, s5, v2
	v_readfirstlane_b32 s1, v3
	v_add_u32_e32 v3, s4, v2
	v_min_i32_e32 v3, s16, v3
	v_cmp_lt_i32_e32 vcc, v2, v3
	s_and_saveexec_b64 s[4:5], vcc
	s_cbranch_execz .LBB2_21
; %bb.4:
	s_sub_i32 s4, 0, s12
	s_mul_i32 s4, s4, s3
	s_mul_hi_u32 s4, s3, s4
	s_add_i32 s3, s3, s4
	s_sub_i32 s4, 0, s0
	s_mul_i32 s4, s4, s1
	s_mul_hi_u32 s3, s6, s3
	s_mul_hi_u32 s4, s1, s4
	s_add_i32 s1, s1, s4
	s_mul_i32 s4, s3, s12
	s_add_i32 s8, s17, -1
	s_sub_i32 s4, s6, s4
	s_add_i32 s10, s8, s0
	s_add_i32 s5, s3, 1
	s_sub_i32 s11, s4, s12
	s_cmp_ge_u32 s4, s12
	s_cselect_b32 s3, s5, s3
	s_cselect_b32 s4, s11, s4
	s_add_i32 s5, s3, 1
	s_cmp_ge_u32 s4, s12
	s_cselect_b32 s3, s5, s3
	s_mul_i32 s4, s3, s12
	s_mul_i32 s3, s3, s9
	v_add_u32_e32 v4, s3, v0
	s_mul_i32 s3, s16, s13
	s_sub_i32 s6, s6, s4
	s_mul_i32 s3, s3, s17
	s_mul_i32 s4, s3, s6
	s_ashr_i32 s5, s4, 31
	s_lshl_b64 s[4:5], s[4:5], 1
	s_add_u32 s12, s26, s4
	s_mul_i32 s4, s6, s20
	s_addc_u32 s37, s27, s5
	s_ashr_i32 s5, s4, 31
	s_mul_hi_u32 s1, s10, s1
	s_lshl_b64 s[4:5], s[4:5], 1
	s_add_u32 s38, s24, s4
	s_mul_i32 s3, s1, s0
	s_addc_u32 s39, s25, s5
	s_sub_i32 s3, s10, s3
	s_add_i32 s4, s1, 1
	s_sub_i32 s5, s3, s0
	s_cmp_ge_u32 s3, s0
	s_cselect_b32 s1, s4, s1
	s_cselect_b32 s3, s5, s3
	s_add_i32 s4, s1, 1
	s_cmp_ge_u32 s3, s0
	s_cselect_b32 s0, s4, s1
	s_abs_i32 s40, s16
	v_cvt_f32_u32_e32 v6, s40
	s_abs_i32 s41, s17
	v_cvt_f32_u32_e32 v9, s41
	s_mul_i32 s1, s0, s7
	v_rcp_iflag_f32_e32 v7, v6
	v_add_u32_e32 v5, s1, v1
	v_add_u32_e32 v1, s0, v5
	v_min_i32_e32 v6, s17, v1
	v_mul_f32_e32 v1, 0x4f7ffffe, v7
	v_rcp_iflag_f32_e32 v7, v9
	v_cvt_u32_f32_e32 v1, v1
	s_sub_i32 s0, 0, s40
	s_sub_i32 s3, 0, s41
	v_mul_f32_e32 v7, 0x4f7ffffe, v7
	v_mul_lo_u32 v9, s0, v1
	v_cvt_u32_f32_e32 v10, v7
	s_mul_i32 s42, s18, s9
	v_lshlrev_b32_e32 v0, 2, v0
	v_mul_hi_u32 v7, v1, v9
	v_mul_lo_u32 v9, s3, v10
	v_cmp_lt_i32_e32 vcc, v5, v6
	v_cmp_gt_i32_e64 s[0:1], s13, v4
	v_add_u32_e32 v7, v1, v7
	v_mul_hi_u32 v1, v10, v9
	v_mul_lo_u32 v9, s19, v8
	s_ashr_i32 s16, s16, 31
	s_add_i32 s43, s14, s2
	v_add_u32_e32 v8, v10, v1
	v_mul_lo_u32 v1, v9, s9
	v_mul_lo_u32 v9, s21, v4
	s_ashr_i32 s44, s17, 31
	s_add_i32 s45, s15, s8
	v_lshlrev_b32_e32 v1, 2, v1
	s_mul_i32 s46, s42, s21
	v_add3_u32 v10, v1, v0, 0
	s_lshl_b32 s47, s9, 2
	s_mov_b64 s[8:9], 0
	s_branch .LBB2_6
.LBB2_5:                                ;   in Loop: Header=BB2_6 Depth=1
	s_or_b64 exec, exec, s[10:11]
	v_add_u32_e32 v2, s33, v2
	v_cmp_ge_i32_e64 s[2:3], v2, v3
	s_or_b64 s[8:9], s[2:3], s[8:9]
	s_andn2_b64 exec, exec, s[8:9]
	s_cbranch_execz .LBB2_21
.LBB2_6:                                ; =>This Loop Header: Depth=1
                                        ;     Child Loop BB2_9 Depth 2
                                        ;       Child Loop BB2_12 Depth 3
                                        ;         Child Loop BB2_15 Depth 4
                                        ;           Child Loop BB2_17 Depth 5
                                        ;       Child Loop BB2_20 Depth 3
	s_and_saveexec_b64 s[10:11], vcc
	s_cbranch_execz .LBB2_5
; %bb.7:                                ;   in Loop: Header=BB2_6 Depth=1
	v_mul_lo_u32 v0, v2, s14
	s_mov_b64 s[18:19], 0
	v_sub_u32_e32 v1, 0, v0
	v_max_i32_e32 v1, v0, v1
	v_mul_hi_u32 v11, v1, v7
	v_ashrrev_i32_e32 v12, 31, v0
	v_add_u32_e32 v0, s43, v0
	v_sub_u32_e32 v14, 0, v0
	v_mul_lo_u32 v13, v11, s40
	v_max_i32_e32 v14, v0, v14
	v_add_u32_e32 v15, 1, v11
	v_xor_b32_e32 v12, s16, v12
	v_sub_u32_e32 v1, v1, v13
	v_cmp_le_u32_e64 s[2:3], s40, v1
	v_cndmask_b32_e64 v11, v11, v15, s[2:3]
	v_mul_hi_u32 v15, v14, v7
	v_subrev_u32_e32 v13, s40, v1
	v_cndmask_b32_e64 v1, v1, v13, s[2:3]
	v_add_u32_e32 v13, 1, v11
	v_cmp_le_u32_e64 s[2:3], s40, v1
	v_cndmask_b32_e64 v1, v11, v13, s[2:3]
	v_mul_lo_u32 v13, v15, s40
	v_xor_b32_e32 v1, v1, v12
	v_sub_u32_e32 v11, v1, v12
	v_add_u32_e32 v12, 1, v15
	v_sub_u32_e32 v1, v14, v13
	v_cmp_le_u32_e64 s[2:3], s40, v1
	v_subrev_u32_e32 v13, s40, v1
	v_cndmask_b32_e64 v12, v15, v12, s[2:3]
	v_cndmask_b32_e64 v1, v1, v13, s[2:3]
	v_ashrrev_i32_e32 v0, 31, v0
	v_add_u32_e32 v13, 1, v12
	v_cmp_le_u32_e64 s[2:3], s40, v1
	v_xor_b32_e32 v0, s16, v0
	v_cndmask_b32_e64 v1, v12, v13, s[2:3]
	v_mul_lo_u32 v14, v2, s17
	v_xor_b32_e32 v1, v1, v0
	v_sub_u32_e32 v12, v1, v0
	v_sub_u32_e32 v13, v12, v11
	v_cmp_gt_i32_e64 s[2:3], v12, v11
	v_mov_b32_e32 v15, v5
	s_branch .LBB2_9
.LBB2_8:                                ;   in Loop: Header=BB2_9 Depth=2
	s_or_b64 exec, exec, s[20:21]
	v_add_u32_e32 v15, s36, v15
	v_cmp_ge_i32_e64 s[4:5], v15, v6
	s_or_b64 s[18:19], s[4:5], s[18:19]
	s_andn2_b64 exec, exec, s[18:19]
	s_cbranch_execz .LBB2_5
.LBB2_9:                                ;   Parent Loop BB2_6 Depth=1
                                        ; =>  This Loop Header: Depth=2
                                        ;       Child Loop BB2_12 Depth 3
                                        ;         Child Loop BB2_15 Depth 4
                                        ;           Child Loop BB2_17 Depth 5
                                        ;       Child Loop BB2_20 Depth 3
	v_mul_lo_u32 v0, v15, s15
	v_sub_u32_e32 v1, 0, v0
	v_max_i32_e32 v1, v0, v1
	v_mul_hi_u32 v16, v1, v8
	v_ashrrev_i32_e32 v17, 31, v0
	v_add_u32_e32 v0, s45, v0
	v_sub_u32_e32 v19, 0, v0
	v_mul_lo_u32 v18, v16, s41
	v_max_i32_e32 v19, v0, v19
	v_add_u32_e32 v20, 1, v16
	v_xor_b32_e32 v17, s44, v17
	v_sub_u32_e32 v1, v1, v18
	v_cmp_le_u32_e64 s[4:5], s41, v1
	v_cndmask_b32_e64 v16, v16, v20, s[4:5]
	v_mul_hi_u32 v20, v19, v8
	v_subrev_u32_e32 v18, s41, v1
	v_cndmask_b32_e64 v1, v1, v18, s[4:5]
	v_add_u32_e32 v18, 1, v16
	v_cmp_le_u32_e64 s[4:5], s41, v1
	v_cndmask_b32_e64 v1, v16, v18, s[4:5]
	v_mul_lo_u32 v18, v20, s41
	v_xor_b32_e32 v1, v1, v17
	v_sub_u32_e32 v16, v1, v17
	v_add_u32_e32 v17, 1, v20
	v_sub_u32_e32 v1, v19, v18
	v_cmp_le_u32_e64 s[4:5], s41, v1
	v_subrev_u32_e32 v18, s41, v1
	v_cndmask_b32_e64 v17, v20, v17, s[4:5]
	v_cndmask_b32_e64 v1, v1, v18, s[4:5]
	v_ashrrev_i32_e32 v0, 31, v0
	v_add_u32_e32 v18, 1, v17
	v_cmp_le_u32_e64 s[4:5], s41, v1
	v_xor_b32_e32 v0, s44, v0
	v_cndmask_b32_e64 v1, v17, v18, s[4:5]
	v_xor_b32_e32 v1, v1, v0
	v_sub_u32_e32 v17, v1, v0
	s_and_saveexec_b64 s[20:21], s[2:3]
	s_cbranch_execz .LBB2_18
; %bb.10:                               ;   in Loop: Header=BB2_9 Depth=2
	v_cmp_gt_i32_e64 s[4:5], v17, v16
	s_mov_b64 s[24:25], 0
	v_mov_b32_e32 v18, v11
	s_branch .LBB2_12
.LBB2_11:                               ;   in Loop: Header=BB2_12 Depth=3
	s_or_b64 exec, exec, s[26:27]
	v_add_u32_e32 v18, 1, v18
	v_cmp_ge_i32_e64 s[6:7], v18, v12
	s_or_b64 s[24:25], s[6:7], s[24:25]
	s_andn2_b64 exec, exec, s[24:25]
	s_cbranch_execz .LBB2_18
.LBB2_12:                               ;   Parent Loop BB2_6 Depth=1
                                        ;     Parent Loop BB2_9 Depth=2
                                        ; =>    This Loop Header: Depth=3
                                        ;         Child Loop BB2_15 Depth 4
                                        ;           Child Loop BB2_17 Depth 5
	s_and_saveexec_b64 s[26:27], s[4:5]
	s_cbranch_execz .LBB2_11
; %bb.13:                               ;   in Loop: Header=BB2_12 Depth=3
	v_mul_lo_u32 v0, v18, s22
	v_mov_b32_e32 v20, s39
	s_mov_b64 s[28:29], 0
	v_mov_b32_e32 v21, v16
	v_ashrrev_i32_e32 v1, 31, v0
	v_lshlrev_b64 v[0:1], 1, v[0:1]
	v_add_co_u32_e64 v19, s[6:7], s38, v0
	v_addc_co_u32_e64 v20, s[6:7], v20, v1, s[6:7]
	s_branch .LBB2_15
.LBB2_14:                               ;   in Loop: Header=BB2_15 Depth=4
	s_or_b64 exec, exec, s[30:31]
	v_add_u32_e32 v21, 1, v21
	v_cmp_ge_i32_e64 s[6:7], v21, v17
	s_or_b64 s[28:29], s[6:7], s[28:29]
	s_andn2_b64 exec, exec, s[28:29]
	s_cbranch_execz .LBB2_11
.LBB2_15:                               ;   Parent Loop BB2_6 Depth=1
                                        ;     Parent Loop BB2_9 Depth=2
                                        ;       Parent Loop BB2_12 Depth=3
                                        ; =>      This Loop Header: Depth=4
                                        ;           Child Loop BB2_17 Depth 5
	s_and_saveexec_b64 s[30:31], s[0:1]
	s_cbranch_execz .LBB2_14
; %bb.16:                               ;   in Loop: Header=BB2_15 Depth=4
	v_mul_lo_u32 v0, v21, s23
	s_mov_b64 s[34:35], 0
	v_mov_b32_e32 v24, v10
	v_mov_b32_e32 v25, v4
	v_ashrrev_i32_e32 v1, 31, v0
	v_lshlrev_b64 v[0:1], 1, v[0:1]
	v_add_co_u32_e64 v22, s[6:7], v19, v0
	v_addc_co_u32_e64 v23, s[6:7], v20, v1, s[6:7]
	v_mov_b32_e32 v0, v9
.LBB2_17:                               ;   Parent Loop BB2_6 Depth=1
                                        ;     Parent Loop BB2_9 Depth=2
                                        ;       Parent Loop BB2_12 Depth=3
                                        ;         Parent Loop BB2_15 Depth=4
                                        ; =>        This Inner Loop Header: Depth=5
	v_ashrrev_i32_e32 v1, 31, v0
	v_lshlrev_b64 v[26:27], 1, v[0:1]
	v_add_u32_e32 v25, s42, v25
	v_add_co_u32_e64 v26, s[6:7], v22, v26
	v_addc_co_u32_e64 v27, s[6:7], v23, v27, s[6:7]
	global_load_ushort v1, v[26:27], off
	ds_read_b32 v26, v24
	v_cmp_le_i32_e64 s[6:7], s13, v25
	v_add_u32_e32 v0, s46, v0
	s_or_b64 s[34:35], s[6:7], s[34:35]
	s_waitcnt vmcnt(0)
	v_cvt_f32_f16_e32 v1, v1
	s_waitcnt lgkmcnt(0)
	v_add_f32_e32 v1, v26, v1
	ds_write_b32 v24, v1
	v_add_u32_e32 v24, s47, v24
	s_andn2_b64 exec, exec, s[34:35]
	s_cbranch_execnz .LBB2_17
	s_branch .LBB2_14
.LBB2_18:                               ;   in Loop: Header=BB2_9 Depth=2
	s_or_b64 exec, exec, s[20:21]
	s_and_saveexec_b64 s[20:21], s[0:1]
	s_cbranch_execz .LBB2_8
; %bb.19:                               ;   in Loop: Header=BB2_9 Depth=2
	v_sub_u32_e32 v0, v17, v16
	v_mul_lo_u32 v0, v0, v13
	v_mov_b32_e32 v17, s37
	s_mov_b64 s[24:25], 0
	v_mov_b32_e32 v19, v10
	v_cvt_f32_i32_e32 v1, v0
	v_add_u32_e32 v0, v15, v14
	v_mul_lo_u32 v0, v0, s13
	v_cvt_f16_f32_e32 v16, v1
	v_ashrrev_i32_e32 v1, 31, v0
	v_lshlrev_b64 v[0:1], 1, v[0:1]
	v_rcp_f16_e32 v18, v16
	v_add_co_u32_e64 v16, s[4:5], s12, v0
	v_addc_co_u32_e64 v17, s[4:5], v17, v1, s[4:5]
	v_cvt_f32_f16_e32 v18, v18
	v_mov_b32_e32 v0, v4
.LBB2_20:                               ;   Parent Loop BB2_6 Depth=1
                                        ;     Parent Loop BB2_9 Depth=2
                                        ; =>    This Inner Loop Header: Depth=3
	ds_read_b32 v22, v19
	v_ashrrev_i32_e32 v1, 31, v0
	v_mov_b32_e32 v20, 0
	ds_write_b32 v19, v20
	v_lshlrev_b64 v[20:21], 1, v[0:1]
	v_add_u32_e32 v0, s42, v0
	v_cmp_le_i32_e64 s[4:5], s13, v0
	v_add_co_u32_e64 v20, s[6:7], v16, v20
	v_add_u32_e32 v19, s47, v19
	v_addc_co_u32_e64 v21, s[6:7], v17, v21, s[6:7]
	s_or_b64 s[24:25], s[4:5], s[24:25]
	s_waitcnt lgkmcnt(1)
	v_fma_mixlo_f16 v1, v22, v18, 0
	global_store_short v[20:21], v1, off
	s_andn2_b64 exec, exec, s[24:25]
	s_cbranch_execnz .LBB2_20
	s_branch .LBB2_8
.LBB2_21:
	s_endpgm
	.section	.rodata,"a",@progbits
	.p2align	6, 0x0
	.amdhsa_kernel _ZN2at6native12_GLOBAL__N_126adaptive_average_pool_nhwcIiN3c104HalfEEEvPKT0_PS5_iiiiiiiiT_S9_S9_S9_
		.amdhsa_group_segment_fixed_size 0
		.amdhsa_private_segment_fixed_size 0
		.amdhsa_kernarg_size 320
		.amdhsa_user_sgpr_count 6
		.amdhsa_user_sgpr_private_segment_buffer 1
		.amdhsa_user_sgpr_dispatch_ptr 0
		.amdhsa_user_sgpr_queue_ptr 0
		.amdhsa_user_sgpr_kernarg_segment_ptr 1
		.amdhsa_user_sgpr_dispatch_id 0
		.amdhsa_user_sgpr_flat_scratch_init 0
		.amdhsa_user_sgpr_private_segment_size 0
		.amdhsa_uses_dynamic_stack 0
		.amdhsa_system_sgpr_private_segment_wavefront_offset 0
		.amdhsa_system_sgpr_workgroup_id_x 1
		.amdhsa_system_sgpr_workgroup_id_y 1
		.amdhsa_system_sgpr_workgroup_id_z 1
		.amdhsa_system_sgpr_workgroup_info 0
		.amdhsa_system_vgpr_workitem_id 2
		.amdhsa_next_free_vgpr 28
		.amdhsa_next_free_sgpr 48
		.amdhsa_reserve_vcc 1
		.amdhsa_reserve_flat_scratch 0
		.amdhsa_float_round_mode_32 0
		.amdhsa_float_round_mode_16_64 0
		.amdhsa_float_denorm_mode_32 3
		.amdhsa_float_denorm_mode_16_64 3
		.amdhsa_dx10_clamp 1
		.amdhsa_ieee_mode 1
		.amdhsa_fp16_overflow 0
		.amdhsa_exception_fp_ieee_invalid_op 0
		.amdhsa_exception_fp_denorm_src 0
		.amdhsa_exception_fp_ieee_div_zero 0
		.amdhsa_exception_fp_ieee_overflow 0
		.amdhsa_exception_fp_ieee_underflow 0
		.amdhsa_exception_fp_ieee_inexact 0
		.amdhsa_exception_int_div_zero 0
	.end_amdhsa_kernel
	.section	.text._ZN2at6native12_GLOBAL__N_126adaptive_average_pool_nhwcIiN3c104HalfEEEvPKT0_PS5_iiiiiiiiT_S9_S9_S9_,"axG",@progbits,_ZN2at6native12_GLOBAL__N_126adaptive_average_pool_nhwcIiN3c104HalfEEEvPKT0_PS5_iiiiiiiiT_S9_S9_S9_,comdat
.Lfunc_end2:
	.size	_ZN2at6native12_GLOBAL__N_126adaptive_average_pool_nhwcIiN3c104HalfEEEvPKT0_PS5_iiiiiiiiT_S9_S9_S9_, .Lfunc_end2-_ZN2at6native12_GLOBAL__N_126adaptive_average_pool_nhwcIiN3c104HalfEEEvPKT0_PS5_iiiiiiiiT_S9_S9_S9_
                                        ; -- End function
	.set _ZN2at6native12_GLOBAL__N_126adaptive_average_pool_nhwcIiN3c104HalfEEEvPKT0_PS5_iiiiiiiiT_S9_S9_S9_.num_vgpr, 28
	.set _ZN2at6native12_GLOBAL__N_126adaptive_average_pool_nhwcIiN3c104HalfEEEvPKT0_PS5_iiiiiiiiT_S9_S9_S9_.num_agpr, 0
	.set _ZN2at6native12_GLOBAL__N_126adaptive_average_pool_nhwcIiN3c104HalfEEEvPKT0_PS5_iiiiiiiiT_S9_S9_S9_.numbered_sgpr, 48
	.set _ZN2at6native12_GLOBAL__N_126adaptive_average_pool_nhwcIiN3c104HalfEEEvPKT0_PS5_iiiiiiiiT_S9_S9_S9_.num_named_barrier, 0
	.set _ZN2at6native12_GLOBAL__N_126adaptive_average_pool_nhwcIiN3c104HalfEEEvPKT0_PS5_iiiiiiiiT_S9_S9_S9_.private_seg_size, 0
	.set _ZN2at6native12_GLOBAL__N_126adaptive_average_pool_nhwcIiN3c104HalfEEEvPKT0_PS5_iiiiiiiiT_S9_S9_S9_.uses_vcc, 1
	.set _ZN2at6native12_GLOBAL__N_126adaptive_average_pool_nhwcIiN3c104HalfEEEvPKT0_PS5_iiiiiiiiT_S9_S9_S9_.uses_flat_scratch, 0
	.set _ZN2at6native12_GLOBAL__N_126adaptive_average_pool_nhwcIiN3c104HalfEEEvPKT0_PS5_iiiiiiiiT_S9_S9_S9_.has_dyn_sized_stack, 0
	.set _ZN2at6native12_GLOBAL__N_126adaptive_average_pool_nhwcIiN3c104HalfEEEvPKT0_PS5_iiiiiiiiT_S9_S9_S9_.has_recursion, 0
	.set _ZN2at6native12_GLOBAL__N_126adaptive_average_pool_nhwcIiN3c104HalfEEEvPKT0_PS5_iiiiiiiiT_S9_S9_S9_.has_indirect_call, 0
	.section	.AMDGPU.csdata,"",@progbits
; Kernel info:
; codeLenInByte = 1740
; TotalNumSgprs: 52
; NumVgprs: 28
; ScratchSize: 0
; MemoryBound: 0
; FloatMode: 240
; IeeeMode: 1
; LDSByteSize: 0 bytes/workgroup (compile time only)
; SGPRBlocks: 6
; VGPRBlocks: 6
; NumSGPRsForWavesPerEU: 52
; NumVGPRsForWavesPerEU: 28
; Occupancy: 9
; WaveLimiterHint : 0
; COMPUTE_PGM_RSRC2:SCRATCH_EN: 0
; COMPUTE_PGM_RSRC2:USER_SGPR: 6
; COMPUTE_PGM_RSRC2:TRAP_HANDLER: 0
; COMPUTE_PGM_RSRC2:TGID_X_EN: 1
; COMPUTE_PGM_RSRC2:TGID_Y_EN: 1
; COMPUTE_PGM_RSRC2:TGID_Z_EN: 1
; COMPUTE_PGM_RSRC2:TIDIG_COMP_CNT: 2
	.section	.text._ZN2at6native12_GLOBAL__N_126adaptive_average_pool_nhwcIiN3c108BFloat16EEEvPKT0_PS5_iiiiiiiiT_S9_S9_S9_,"axG",@progbits,_ZN2at6native12_GLOBAL__N_126adaptive_average_pool_nhwcIiN3c108BFloat16EEEvPKT0_PS5_iiiiiiiiT_S9_S9_S9_,comdat
	.globl	_ZN2at6native12_GLOBAL__N_126adaptive_average_pool_nhwcIiN3c108BFloat16EEEvPKT0_PS5_iiiiiiiiT_S9_S9_S9_ ; -- Begin function _ZN2at6native12_GLOBAL__N_126adaptive_average_pool_nhwcIiN3c108BFloat16EEEvPKT0_PS5_iiiiiiiiT_S9_S9_S9_
	.p2align	8
	.type	_ZN2at6native12_GLOBAL__N_126adaptive_average_pool_nhwcIiN3c108BFloat16EEEvPKT0_PS5_iiiiiiiiT_S9_S9_S9_,@function
_ZN2at6native12_GLOBAL__N_126adaptive_average_pool_nhwcIiN3c108BFloat16EEEvPKT0_PS5_iiiiiiiiT_S9_S9_S9_: ; @_ZN2at6native12_GLOBAL__N_126adaptive_average_pool_nhwcIiN3c108BFloat16EEEvPKT0_PS5_iiiiiiiiT_S9_S9_S9_
; %bb.0:
	s_load_dwordx4 s[0:3], s[4:5], 0x44
	s_load_dwordx4 s[20:23], s[4:5], 0x30
	;; [unrolled: 1-line block ×3, first 2 shown]
	s_load_dwordx8 s[12:19], s[4:5], 0x10
	s_waitcnt lgkmcnt(0)
	s_lshr_b32 s36, s2, 16
	s_and_b32 s9, s2, 0xffff
	v_mad_u32_u24 v8, v2, s36, v1
	s_and_b32 s33, s3, 0xffff
	v_mad_u64_u32 v[3:4], s[2:3], v8, s9, v[0:1]
	s_mul_i32 s2, s19, s9
	s_mul_i32 s10, s2, s36
	;; [unrolled: 1-line block ×3, first 2 shown]
	v_cmp_gt_u32_e32 vcc, s10, v3
	s_and_saveexec_b64 s[2:3], vcc
	s_cbranch_execz .LBB3_3
; %bb.1:
	s_mul_i32 s11, s36, s9
	s_mul_i32 s11, s11, s33
	v_lshl_add_u32 v4, v3, 2, 0
	s_lshl_b32 s28, s11, 2
	s_mov_b64 s[4:5], 0
	v_mov_b32_e32 v5, 0
.LBB3_2:                                ; =>This Inner Loop Header: Depth=1
	v_add_u32_e32 v3, s11, v3
	v_cmp_le_u32_e32 vcc, s10, v3
	ds_write_b32 v4, v5
	s_or_b64 s[4:5], vcc, s[4:5]
	v_add_u32_e32 v4, s28, v4
	s_andn2_b64 exec, exec, s[4:5]
	s_cbranch_execnz .LBB3_2
.LBB3_3:
	s_or_b64 exec, exec, s[2:3]
	v_cvt_f32_u32_e32 v4, s1
	v_cvt_f32_u32_e32 v3, s12
	s_sub_i32 s5, 0, s1
	s_add_i32 s4, s16, -1
	v_rcp_iflag_f32_e32 v4, v4
	v_rcp_iflag_f32_e32 v3, v3
	s_add_i32 s3, s4, s1
	s_waitcnt lgkmcnt(0)
	v_mul_f32_e32 v4, 0x4f7ffffe, v4
	v_cvt_u32_f32_e32 v4, v4
	v_mul_f32_e32 v3, 0x4f7ffffe, v3
	v_cvt_u32_f32_e32 v3, v3
	s_barrier
	v_readfirstlane_b32 s10, v4
	s_mul_i32 s5, s5, s10
	v_readfirstlane_b32 s2, v3
	s_mul_hi_u32 s5, s10, s5
	v_cvt_f32_u32_e32 v3, s0
	s_add_i32 s10, s10, s5
	s_mul_hi_u32 s5, s3, s10
	s_mul_i32 s10, s5, s1
	s_sub_i32 s3, s3, s10
	v_rcp_iflag_f32_e32 v3, v3
	s_add_i32 s10, s5, 1
	s_sub_i32 s11, s3, s1
	s_cmp_ge_u32 s3, s1
	s_cselect_b32 s5, s10, s5
	s_cselect_b32 s3, s11, s3
	v_mul_f32_e32 v3, 0x4f7ffffe, v3
	s_add_i32 s10, s5, 1
	v_cvt_u32_f32_e32 v3, v3
	s_cmp_ge_u32 s3, s1
	s_cselect_b32 s3, s10, s5
	s_mul_i32 s5, s3, s8
	v_add_u32_e32 v2, s5, v2
	v_readfirstlane_b32 s1, v3
	v_add_u32_e32 v3, s3, v2
	v_min_i32_e32 v3, s16, v3
	v_cmp_lt_i32_e32 vcc, v2, v3
	s_and_saveexec_b64 s[10:11], vcc
	s_cbranch_execz .LBB3_21
; %bb.4:
	s_sub_i32 s3, 0, s12
	s_mul_i32 s3, s3, s2
	s_mul_hi_u32 s3, s2, s3
	s_add_i32 s2, s2, s3
	s_sub_i32 s3, 0, s0
	s_mul_i32 s3, s3, s1
	s_mul_hi_u32 s2, s6, s2
	s_mul_hi_u32 s3, s1, s3
	s_add_i32 s1, s1, s3
	s_mul_i32 s3, s2, s12
	s_add_i32 s5, s17, -1
	s_sub_i32 s3, s6, s3
	s_add_i32 s8, s5, s0
	s_add_i32 s10, s2, 1
	s_sub_i32 s11, s3, s12
	s_cmp_ge_u32 s3, s12
	s_cselect_b32 s2, s10, s2
	s_cselect_b32 s3, s11, s3
	s_add_i32 s10, s2, 1
	s_cmp_ge_u32 s3, s12
	s_cselect_b32 s2, s10, s2
	s_mul_i32 s3, s2, s12
	s_mul_i32 s2, s2, s9
	v_add_u32_e32 v4, s2, v0
	s_mul_i32 s2, s16, s13
	s_sub_i32 s6, s6, s3
	s_mul_i32 s2, s2, s17
	s_mul_i32 s2, s2, s6
	s_ashr_i32 s3, s2, 31
	s_lshl_b64 s[2:3], s[2:3], 1
	s_add_u32 s12, s26, s2
	s_mul_i32 s2, s6, s20
	s_addc_u32 s37, s27, s3
	s_ashr_i32 s3, s2, 31
	s_mul_hi_u32 s1, s8, s1
	s_lshl_b64 s[2:3], s[2:3], 1
	s_add_u32 s38, s24, s2
	s_mul_i32 s2, s1, s0
	s_addc_u32 s39, s25, s3
	s_sub_i32 s2, s8, s2
	s_add_i32 s3, s1, 1
	s_sub_i32 s6, s2, s0
	s_cmp_ge_u32 s2, s0
	s_cselect_b32 s1, s3, s1
	s_cselect_b32 s2, s6, s2
	s_add_i32 s3, s1, 1
	s_cmp_ge_u32 s2, s0
	s_cselect_b32 s0, s3, s1
	s_abs_i32 s40, s16
	v_cvt_f32_u32_e32 v6, s40
	s_abs_i32 s41, s17
	v_cvt_f32_u32_e32 v9, s41
	s_mul_i32 s1, s0, s7
	v_rcp_iflag_f32_e32 v7, v6
	v_add_u32_e32 v5, s1, v1
	v_add_u32_e32 v1, s0, v5
	v_min_i32_e32 v6, s17, v1
	v_mul_f32_e32 v1, 0x4f7ffffe, v7
	v_rcp_iflag_f32_e32 v7, v9
	v_cvt_u32_f32_e32 v1, v1
	s_sub_i32 s2, 0, s40
	s_sub_i32 s6, 0, s41
	v_mul_f32_e32 v7, 0x4f7ffffe, v7
	v_mul_lo_u32 v9, s2, v1
	v_cvt_u32_f32_e32 v10, v7
	s_mul_i32 s42, s18, s9
	v_lshlrev_b32_e32 v0, 2, v0
	v_mul_hi_u32 v7, v1, v9
	v_mul_lo_u32 v9, s6, v10
	v_cmp_lt_i32_e64 s[0:1], v5, v6
	v_cmp_gt_i32_e64 s[2:3], s13, v4
	v_add_u32_e32 v7, v1, v7
	v_mul_hi_u32 v1, v10, v9
	v_mul_lo_u32 v9, s19, v8
	s_ashr_i32 s16, s16, 31
	s_add_i32 s43, s14, s4
	v_add_u32_e32 v8, v10, v1
	v_mul_lo_u32 v1, v9, s9
	v_mul_lo_u32 v9, s21, v4
	s_ashr_i32 s44, s17, 31
	s_add_i32 s45, s15, s5
	v_lshlrev_b32_e32 v1, 2, v1
	s_mul_i32 s46, s42, s21
	v_add3_u32 v10, v1, v0, 0
	s_lshl_b32 s47, s9, 2
	s_mov_b64 s[8:9], 0
	s_movk_i32 s48, 0x7fff
	s_branch .LBB3_6
.LBB3_5:                                ;   in Loop: Header=BB3_6 Depth=1
	s_or_b64 exec, exec, s[10:11]
	v_add_u32_e32 v2, s33, v2
	v_cmp_ge_i32_e32 vcc, v2, v3
	s_or_b64 s[8:9], vcc, s[8:9]
	s_andn2_b64 exec, exec, s[8:9]
	s_cbranch_execz .LBB3_21
.LBB3_6:                                ; =>This Loop Header: Depth=1
                                        ;     Child Loop BB3_9 Depth 2
                                        ;       Child Loop BB3_12 Depth 3
                                        ;         Child Loop BB3_15 Depth 4
                                        ;           Child Loop BB3_17 Depth 5
                                        ;       Child Loop BB3_20 Depth 3
	s_and_saveexec_b64 s[10:11], s[0:1]
	s_cbranch_execz .LBB3_5
; %bb.7:                                ;   in Loop: Header=BB3_6 Depth=1
	v_mul_lo_u32 v0, v2, s14
	s_mov_b64 s[18:19], 0
	v_sub_u32_e32 v1, 0, v0
	v_max_i32_e32 v1, v0, v1
	v_mul_hi_u32 v11, v1, v7
	v_ashrrev_i32_e32 v12, 31, v0
	v_add_u32_e32 v0, s43, v0
	v_sub_u32_e32 v14, 0, v0
	v_mul_lo_u32 v13, v11, s40
	v_max_i32_e32 v14, v0, v14
	v_add_u32_e32 v15, 1, v11
	v_xor_b32_e32 v12, s16, v12
	v_sub_u32_e32 v1, v1, v13
	v_cmp_le_u32_e32 vcc, s40, v1
	v_cndmask_b32_e32 v11, v11, v15, vcc
	v_mul_hi_u32 v15, v14, v7
	v_subrev_u32_e32 v13, s40, v1
	v_cndmask_b32_e32 v1, v1, v13, vcc
	v_add_u32_e32 v13, 1, v11
	v_cmp_le_u32_e32 vcc, s40, v1
	v_cndmask_b32_e32 v1, v11, v13, vcc
	v_mul_lo_u32 v13, v15, s40
	v_xor_b32_e32 v1, v1, v12
	v_sub_u32_e32 v11, v1, v12
	v_add_u32_e32 v12, 1, v15
	v_sub_u32_e32 v1, v14, v13
	v_cmp_le_u32_e32 vcc, s40, v1
	v_subrev_u32_e32 v13, s40, v1
	v_cndmask_b32_e32 v12, v15, v12, vcc
	v_cndmask_b32_e32 v1, v1, v13, vcc
	v_ashrrev_i32_e32 v0, 31, v0
	v_add_u32_e32 v13, 1, v12
	v_cmp_le_u32_e32 vcc, s40, v1
	v_xor_b32_e32 v0, s16, v0
	v_cndmask_b32_e32 v1, v12, v13, vcc
	v_mul_lo_u32 v14, v2, s17
	v_xor_b32_e32 v1, v1, v0
	v_sub_u32_e32 v12, v1, v0
	v_sub_u32_e32 v13, v12, v11
	v_cmp_gt_i32_e64 s[4:5], v12, v11
	v_mov_b32_e32 v15, v5
	s_branch .LBB3_9
.LBB3_8:                                ;   in Loop: Header=BB3_9 Depth=2
	s_or_b64 exec, exec, s[20:21]
	v_add_u32_e32 v15, s36, v15
	v_cmp_ge_i32_e32 vcc, v15, v6
	s_or_b64 s[18:19], vcc, s[18:19]
	s_andn2_b64 exec, exec, s[18:19]
	s_cbranch_execz .LBB3_5
.LBB3_9:                                ;   Parent Loop BB3_6 Depth=1
                                        ; =>  This Loop Header: Depth=2
                                        ;       Child Loop BB3_12 Depth 3
                                        ;         Child Loop BB3_15 Depth 4
                                        ;           Child Loop BB3_17 Depth 5
                                        ;       Child Loop BB3_20 Depth 3
	v_mul_lo_u32 v0, v15, s15
	v_sub_u32_e32 v1, 0, v0
	v_max_i32_e32 v1, v0, v1
	v_mul_hi_u32 v16, v1, v8
	v_ashrrev_i32_e32 v17, 31, v0
	v_add_u32_e32 v0, s45, v0
	v_sub_u32_e32 v19, 0, v0
	v_mul_lo_u32 v18, v16, s41
	v_max_i32_e32 v19, v0, v19
	v_add_u32_e32 v20, 1, v16
	v_xor_b32_e32 v17, s44, v17
	v_sub_u32_e32 v1, v1, v18
	v_cmp_le_u32_e32 vcc, s41, v1
	v_cndmask_b32_e32 v16, v16, v20, vcc
	v_mul_hi_u32 v20, v19, v8
	v_subrev_u32_e32 v18, s41, v1
	v_cndmask_b32_e32 v1, v1, v18, vcc
	v_add_u32_e32 v18, 1, v16
	v_cmp_le_u32_e32 vcc, s41, v1
	v_cndmask_b32_e32 v1, v16, v18, vcc
	v_mul_lo_u32 v18, v20, s41
	v_xor_b32_e32 v1, v1, v17
	v_sub_u32_e32 v16, v1, v17
	v_add_u32_e32 v17, 1, v20
	v_sub_u32_e32 v1, v19, v18
	v_cmp_le_u32_e32 vcc, s41, v1
	v_subrev_u32_e32 v18, s41, v1
	v_cndmask_b32_e32 v17, v20, v17, vcc
	v_cndmask_b32_e32 v1, v1, v18, vcc
	v_ashrrev_i32_e32 v0, 31, v0
	v_add_u32_e32 v18, 1, v17
	v_cmp_le_u32_e32 vcc, s41, v1
	v_xor_b32_e32 v0, s44, v0
	v_cndmask_b32_e32 v1, v17, v18, vcc
	v_xor_b32_e32 v1, v1, v0
	v_sub_u32_e32 v17, v1, v0
	s_and_saveexec_b64 s[20:21], s[4:5]
	s_cbranch_execz .LBB3_18
; %bb.10:                               ;   in Loop: Header=BB3_9 Depth=2
	v_cmp_gt_i32_e32 vcc, v17, v16
	s_mov_b64 s[24:25], 0
	v_mov_b32_e32 v18, v11
	s_branch .LBB3_12
.LBB3_11:                               ;   in Loop: Header=BB3_12 Depth=3
	s_or_b64 exec, exec, s[26:27]
	v_add_u32_e32 v18, 1, v18
	v_cmp_ge_i32_e64 s[6:7], v18, v12
	s_or_b64 s[24:25], s[6:7], s[24:25]
	s_andn2_b64 exec, exec, s[24:25]
	s_cbranch_execz .LBB3_18
.LBB3_12:                               ;   Parent Loop BB3_6 Depth=1
                                        ;     Parent Loop BB3_9 Depth=2
                                        ; =>    This Loop Header: Depth=3
                                        ;         Child Loop BB3_15 Depth 4
                                        ;           Child Loop BB3_17 Depth 5
	s_and_saveexec_b64 s[26:27], vcc
	s_cbranch_execz .LBB3_11
; %bb.13:                               ;   in Loop: Header=BB3_12 Depth=3
	v_mul_lo_u32 v0, v18, s22
	v_mov_b32_e32 v20, s39
	s_mov_b64 s[28:29], 0
	v_mov_b32_e32 v21, v16
	v_ashrrev_i32_e32 v1, 31, v0
	v_lshlrev_b64 v[0:1], 1, v[0:1]
	v_add_co_u32_e64 v19, s[6:7], s38, v0
	v_addc_co_u32_e64 v20, s[6:7], v20, v1, s[6:7]
	s_branch .LBB3_15
.LBB3_14:                               ;   in Loop: Header=BB3_15 Depth=4
	s_or_b64 exec, exec, s[30:31]
	v_add_u32_e32 v21, 1, v21
	v_cmp_ge_i32_e64 s[6:7], v21, v17
	s_or_b64 s[28:29], s[6:7], s[28:29]
	s_andn2_b64 exec, exec, s[28:29]
	s_cbranch_execz .LBB3_11
.LBB3_15:                               ;   Parent Loop BB3_6 Depth=1
                                        ;     Parent Loop BB3_9 Depth=2
                                        ;       Parent Loop BB3_12 Depth=3
                                        ; =>      This Loop Header: Depth=4
                                        ;           Child Loop BB3_17 Depth 5
	s_and_saveexec_b64 s[30:31], s[2:3]
	s_cbranch_execz .LBB3_14
; %bb.16:                               ;   in Loop: Header=BB3_15 Depth=4
	v_mul_lo_u32 v0, v21, s23
	s_mov_b64 s[34:35], 0
	v_mov_b32_e32 v24, v10
	v_mov_b32_e32 v25, v4
	v_ashrrev_i32_e32 v1, 31, v0
	v_lshlrev_b64 v[0:1], 1, v[0:1]
	v_add_co_u32_e64 v22, s[6:7], v19, v0
	v_addc_co_u32_e64 v23, s[6:7], v20, v1, s[6:7]
	v_mov_b32_e32 v0, v9
.LBB3_17:                               ;   Parent Loop BB3_6 Depth=1
                                        ;     Parent Loop BB3_9 Depth=2
                                        ;       Parent Loop BB3_12 Depth=3
                                        ;         Parent Loop BB3_15 Depth=4
                                        ; =>        This Inner Loop Header: Depth=5
	v_ashrrev_i32_e32 v1, 31, v0
	v_lshlrev_b64 v[26:27], 1, v[0:1]
	v_add_u32_e32 v25, s42, v25
	v_add_co_u32_e64 v26, s[6:7], v22, v26
	v_addc_co_u32_e64 v27, s[6:7], v23, v27, s[6:7]
	global_load_ushort v1, v[26:27], off
	ds_read_b32 v26, v24
	v_cmp_le_i32_e64 s[6:7], s13, v25
	v_add_u32_e32 v0, s46, v0
	s_or_b64 s[34:35], s[6:7], s[34:35]
	s_waitcnt vmcnt(0)
	v_lshlrev_b32_e32 v1, 16, v1
	s_waitcnt lgkmcnt(0)
	v_add_f32_e32 v1, v26, v1
	ds_write_b32 v24, v1
	v_add_u32_e32 v24, s47, v24
	s_andn2_b64 exec, exec, s[34:35]
	s_cbranch_execnz .LBB3_17
	s_branch .LBB3_14
.LBB3_18:                               ;   in Loop: Header=BB3_9 Depth=2
	s_or_b64 exec, exec, s[20:21]
	s_and_saveexec_b64 s[20:21], s[2:3]
	s_cbranch_execz .LBB3_8
; %bb.19:                               ;   in Loop: Header=BB3_9 Depth=2
	v_sub_u32_e32 v0, v17, v16
	v_mul_lo_u32 v0, v0, v13
	v_mov_b32_e32 v21, 0x7fc00000
	s_mov_b64 s[24:25], 0
	v_cvt_f32_i32_e32 v0, v0
	v_bfe_u32 v1, v0, 16, 1
	v_add3_u32 v0, v0, v1, s48
	v_and_b32_e32 v19, 0xffff0000, v0
	v_div_scale_f32 v0, s[6:7], v19, v19, 1.0
	v_div_scale_f32 v1, vcc, 1.0, v19, 1.0
	v_rcp_f32_e32 v16, v0
	v_fma_f32 v17, -v0, v16, 1.0
	v_fmac_f32_e32 v16, v17, v16
	v_mul_f32_e32 v17, v1, v16
	v_fma_f32 v18, -v0, v17, v1
	v_fmac_f32_e32 v17, v18, v16
	v_fma_f32 v0, -v0, v17, v1
	v_div_fmas_f32 v20, v0, v16, v17
	v_add_u32_e32 v0, v15, v14
	v_mul_lo_u32 v0, v0, s13
	v_mov_b32_e32 v18, s37
	v_mov_b32_e32 v16, v10
	v_ashrrev_i32_e32 v1, 31, v0
	v_lshlrev_b64 v[0:1], 1, v[0:1]
	v_add_co_u32_e32 v17, vcc, s12, v0
	v_addc_co_u32_e32 v18, vcc, v18, v1, vcc
	v_div_fixup_f32 v0, v20, v19, 1.0
	v_bfe_u32 v1, v0, 16, 1
	v_add3_u32 v1, v0, v1, s48
	v_and_b32_e32 v1, 0xffff0000, v1
	v_cmp_o_f32_e32 vcc, v0, v0
	v_cndmask_b32_e32 v19, v21, v1, vcc
	v_mov_b32_e32 v0, v4
.LBB3_20:                               ;   Parent Loop BB3_6 Depth=1
                                        ;     Parent Loop BB3_9 Depth=2
                                        ; =>    This Inner Loop Header: Depth=3
	ds_read_b32 v22, v16
	v_ashrrev_i32_e32 v1, 31, v0
	v_mov_b32_e32 v20, 0
	ds_write_b32 v16, v20
	v_lshlrev_b64 v[20:21], 1, v[0:1]
	v_add_u32_e32 v0, s42, v0
	s_waitcnt lgkmcnt(1)
	v_mul_f32_e32 v1, v19, v22
	v_cmp_le_i32_e32 vcc, s13, v0
	v_bfe_u32 v22, v1, 16, 1
	v_mov_b32_e32 v23, 0x7fc0
	v_add_co_u32_e64 v20, s[6:7], v17, v20
	s_or_b64 s[24:25], vcc, s[24:25]
	v_cmp_o_f32_e32 vcc, v1, v1
	v_add3_u32 v1, v1, v22, s48
	v_add_u32_e32 v16, s47, v16
	v_addc_co_u32_e64 v21, s[6:7], v18, v21, s[6:7]
	v_cndmask_b32_sdwa v1, v23, v1, vcc dst_sel:DWORD dst_unused:UNUSED_PAD src0_sel:DWORD src1_sel:WORD_1
	global_store_short v[20:21], v1, off
	s_andn2_b64 exec, exec, s[24:25]
	s_cbranch_execnz .LBB3_20
	s_branch .LBB3_8
.LBB3_21:
	s_endpgm
	.section	.rodata,"a",@progbits
	.p2align	6, 0x0
	.amdhsa_kernel _ZN2at6native12_GLOBAL__N_126adaptive_average_pool_nhwcIiN3c108BFloat16EEEvPKT0_PS5_iiiiiiiiT_S9_S9_S9_
		.amdhsa_group_segment_fixed_size 0
		.amdhsa_private_segment_fixed_size 0
		.amdhsa_kernarg_size 320
		.amdhsa_user_sgpr_count 6
		.amdhsa_user_sgpr_private_segment_buffer 1
		.amdhsa_user_sgpr_dispatch_ptr 0
		.amdhsa_user_sgpr_queue_ptr 0
		.amdhsa_user_sgpr_kernarg_segment_ptr 1
		.amdhsa_user_sgpr_dispatch_id 0
		.amdhsa_user_sgpr_flat_scratch_init 0
		.amdhsa_user_sgpr_private_segment_size 0
		.amdhsa_uses_dynamic_stack 0
		.amdhsa_system_sgpr_private_segment_wavefront_offset 0
		.amdhsa_system_sgpr_workgroup_id_x 1
		.amdhsa_system_sgpr_workgroup_id_y 1
		.amdhsa_system_sgpr_workgroup_id_z 1
		.amdhsa_system_sgpr_workgroup_info 0
		.amdhsa_system_vgpr_workitem_id 2
		.amdhsa_next_free_vgpr 28
		.amdhsa_next_free_sgpr 49
		.amdhsa_reserve_vcc 1
		.amdhsa_reserve_flat_scratch 0
		.amdhsa_float_round_mode_32 0
		.amdhsa_float_round_mode_16_64 0
		.amdhsa_float_denorm_mode_32 3
		.amdhsa_float_denorm_mode_16_64 3
		.amdhsa_dx10_clamp 1
		.amdhsa_ieee_mode 1
		.amdhsa_fp16_overflow 0
		.amdhsa_exception_fp_ieee_invalid_op 0
		.amdhsa_exception_fp_denorm_src 0
		.amdhsa_exception_fp_ieee_div_zero 0
		.amdhsa_exception_fp_ieee_overflow 0
		.amdhsa_exception_fp_ieee_underflow 0
		.amdhsa_exception_fp_ieee_inexact 0
		.amdhsa_exception_int_div_zero 0
	.end_amdhsa_kernel
	.section	.text._ZN2at6native12_GLOBAL__N_126adaptive_average_pool_nhwcIiN3c108BFloat16EEEvPKT0_PS5_iiiiiiiiT_S9_S9_S9_,"axG",@progbits,_ZN2at6native12_GLOBAL__N_126adaptive_average_pool_nhwcIiN3c108BFloat16EEEvPKT0_PS5_iiiiiiiiT_S9_S9_S9_,comdat
.Lfunc_end3:
	.size	_ZN2at6native12_GLOBAL__N_126adaptive_average_pool_nhwcIiN3c108BFloat16EEEvPKT0_PS5_iiiiiiiiT_S9_S9_S9_, .Lfunc_end3-_ZN2at6native12_GLOBAL__N_126adaptive_average_pool_nhwcIiN3c108BFloat16EEEvPKT0_PS5_iiiiiiiiT_S9_S9_S9_
                                        ; -- End function
	.set _ZN2at6native12_GLOBAL__N_126adaptive_average_pool_nhwcIiN3c108BFloat16EEEvPKT0_PS5_iiiiiiiiT_S9_S9_S9_.num_vgpr, 28
	.set _ZN2at6native12_GLOBAL__N_126adaptive_average_pool_nhwcIiN3c108BFloat16EEEvPKT0_PS5_iiiiiiiiT_S9_S9_S9_.num_agpr, 0
	.set _ZN2at6native12_GLOBAL__N_126adaptive_average_pool_nhwcIiN3c108BFloat16EEEvPKT0_PS5_iiiiiiiiT_S9_S9_S9_.numbered_sgpr, 49
	.set _ZN2at6native12_GLOBAL__N_126adaptive_average_pool_nhwcIiN3c108BFloat16EEEvPKT0_PS5_iiiiiiiiT_S9_S9_S9_.num_named_barrier, 0
	.set _ZN2at6native12_GLOBAL__N_126adaptive_average_pool_nhwcIiN3c108BFloat16EEEvPKT0_PS5_iiiiiiiiT_S9_S9_S9_.private_seg_size, 0
	.set _ZN2at6native12_GLOBAL__N_126adaptive_average_pool_nhwcIiN3c108BFloat16EEEvPKT0_PS5_iiiiiiiiT_S9_S9_S9_.uses_vcc, 1
	.set _ZN2at6native12_GLOBAL__N_126adaptive_average_pool_nhwcIiN3c108BFloat16EEEvPKT0_PS5_iiiiiiiiT_S9_S9_S9_.uses_flat_scratch, 0
	.set _ZN2at6native12_GLOBAL__N_126adaptive_average_pool_nhwcIiN3c108BFloat16EEEvPKT0_PS5_iiiiiiiiT_S9_S9_S9_.has_dyn_sized_stack, 0
	.set _ZN2at6native12_GLOBAL__N_126adaptive_average_pool_nhwcIiN3c108BFloat16EEEvPKT0_PS5_iiiiiiiiT_S9_S9_S9_.has_recursion, 0
	.set _ZN2at6native12_GLOBAL__N_126adaptive_average_pool_nhwcIiN3c108BFloat16EEEvPKT0_PS5_iiiiiiiiT_S9_S9_S9_.has_indirect_call, 0
	.section	.AMDGPU.csdata,"",@progbits
; Kernel info:
; codeLenInByte = 1800
; TotalNumSgprs: 53
; NumVgprs: 28
; ScratchSize: 0
; MemoryBound: 0
; FloatMode: 240
; IeeeMode: 1
; LDSByteSize: 0 bytes/workgroup (compile time only)
; SGPRBlocks: 6
; VGPRBlocks: 6
; NumSGPRsForWavesPerEU: 53
; NumVGPRsForWavesPerEU: 28
; Occupancy: 9
; WaveLimiterHint : 0
; COMPUTE_PGM_RSRC2:SCRATCH_EN: 0
; COMPUTE_PGM_RSRC2:USER_SGPR: 6
; COMPUTE_PGM_RSRC2:TRAP_HANDLER: 0
; COMPUTE_PGM_RSRC2:TGID_X_EN: 1
; COMPUTE_PGM_RSRC2:TGID_Y_EN: 1
; COMPUTE_PGM_RSRC2:TGID_Z_EN: 1
; COMPUTE_PGM_RSRC2:TIDIG_COMP_CNT: 2
	.section	.text._ZN2at6native12_GLOBAL__N_121adaptive_average_poolIdEEvPKT_PS3_iiiilll,"axG",@progbits,_ZN2at6native12_GLOBAL__N_121adaptive_average_poolIdEEvPKT_PS3_iiiilll,comdat
	.globl	_ZN2at6native12_GLOBAL__N_121adaptive_average_poolIdEEvPKT_PS3_iiiilll ; -- Begin function _ZN2at6native12_GLOBAL__N_121adaptive_average_poolIdEEvPKT_PS3_iiiilll
	.p2align	8
	.type	_ZN2at6native12_GLOBAL__N_121adaptive_average_poolIdEEvPKT_PS3_iiiilll,@function
_ZN2at6native12_GLOBAL__N_121adaptive_average_poolIdEEvPKT_PS3_iiiilll: ; @_ZN2at6native12_GLOBAL__N_121adaptive_average_poolIdEEvPKT_PS3_iiiilll
; %bb.0:
	s_load_dword s2, s[4:5], 0x44
	s_load_dwordx4 s[8:11], s[4:5], 0x10
	s_add_u32 s0, s4, 56
	s_addc_u32 s1, s5, 0
	s_waitcnt lgkmcnt(0)
	s_lshr_b32 s3, s2, 16
	s_mul_i32 s7, s7, s3
	v_add_u32_e32 v13, s7, v1
	v_cmp_gt_i32_e32 vcc, s10, v13
	s_and_saveexec_b64 s[12:13], vcc
	s_cbranch_execz .LBB4_22
; %bb.1:
	s_load_dwordx4 s[16:19], s[4:5], 0x0
	s_load_dwordx4 s[12:15], s[4:5], 0x20
	s_load_dwordx2 s[20:21], s[4:5], 0x30
	s_mul_i32 s4, s10, s6
	s_mul_i32 s4, s4, s11
	s_ashr_i32 s5, s4, 31
	s_load_dword s37, s[0:1], 0x4
	s_lshl_b64 s[0:1], s[4:5], 3
	s_waitcnt lgkmcnt(0)
	s_add_u32 s33, s18, s0
	s_addc_u32 s36, s19, s1
	s_abs_i32 s40, s10
	v_cvt_f32_u32_e32 v1, s40
	s_abs_i32 s41, s11
	v_cvt_f32_u32_e32 v2, s41
	s_and_b32 s38, s2, 0xffff
	v_rcp_iflag_f32_e32 v1, v1
	s_sub_i32 s2, 0, s40
	v_rcp_iflag_f32_e32 v2, v2
	s_ashr_i32 s4, s6, 31
	v_mul_f32_e32 v1, 0x4f7ffffe, v1
	v_cvt_u32_f32_e32 v1, v1
	v_mul_f32_e32 v2, 0x4f7ffffe, v2
	v_cvt_u32_f32_e32 v3, v2
	s_mul_i32 s37, s37, s3
	v_mul_lo_u32 v2, s2, v1
	s_sub_i32 s2, 0, s41
	v_mul_lo_u32 v4, s2, v3
	s_mul_hi_u32 s2, s12, s6
	s_mul_i32 s3, s12, s4
	v_mul_hi_u32 v2, v1, v2
	v_mul_hi_u32 v4, v3, v4
	s_add_i32 s2, s2, s3
	s_mul_i32 s3, s13, s6
	s_add_i32 s3, s2, s3
	s_mul_i32 s2, s12, s6
	s_ashr_i32 s39, s10, 31
	s_ashr_i32 s43, s9, 31
	;; [unrolled: 1-line block ×3, first 2 shown]
	s_lshl_b64 s[2:3], s[2:3], 3
	s_add_u32 s12, s16, s2
	s_mov_b32 s42, s10
	v_cmp_gt_i32_e64 s[0:1], s11, v0
	s_mov_b32 s44, s9
	s_mov_b32 s46, s11
	v_add_u32_e32 v14, v1, v2
	v_mov_b32_e32 v2, 0
	v_add_u32_e32 v15, v3, v4
	s_addc_u32 s13, s17, s3
	s_lshl_b64 s[14:15], s[14:15], 3
	s_lshl_b64 s[16:17], s[20:21], 3
	s_mov_b64 s[18:19], 0
	s_brev_b32 s47, -2
	s_ashr_i32 s20, s39, 31
	s_branch .LBB4_3
.LBB4_2:                                ;   in Loop: Header=BB4_3 Depth=1
	s_or_b64 exec, exec, s[22:23]
	v_add_u32_e32 v13, s37, v13
	v_cmp_le_i32_e32 vcc, s10, v13
	s_or_b64 s[18:19], vcc, s[18:19]
	s_andn2_b64 exec, exec, s[18:19]
	s_cbranch_execz .LBB4_22
.LBB4_3:                                ; =>This Loop Header: Depth=1
                                        ;     Child Loop BB4_11 Depth 2
                                        ;       Child Loop BB4_18 Depth 3
                                        ;         Child Loop BB4_20 Depth 4
	v_add_u32_e32 v1, 1, v13
	v_mad_i64_i32 v[3:4], s[2:3], v1, s8, -1
	v_mov_b32_e32 v5, v2
	v_or_b32_e32 v6, s39, v4
	v_cmp_ne_u64_e32 vcc, 0, v[5:6]
                                        ; implicit-def: $vgpr5_vgpr6
	s_and_saveexec_b64 s[2:3], vcc
	s_xor_b64 s[4:5], exec, s[2:3]
	s_cbranch_execnz .LBB4_6
; %bb.4:                                ;   in Loop: Header=BB4_3 Depth=1
	s_andn2_saveexec_b64 s[2:3], s[4:5]
	s_cbranch_execnz .LBB4_7
.LBB4_5:                                ;   in Loop: Header=BB4_3 Depth=1
	s_or_b64 exec, exec, s[2:3]
	s_and_saveexec_b64 s[22:23], s[0:1]
	s_cbranch_execz .LBB4_2
	s_branch .LBB4_8
.LBB4_6:                                ;   in Loop: Header=BB4_3 Depth=1
	s_add_u32 s2, s42, s20
	s_mov_b32 s21, s20
	s_addc_u32 s3, s39, s20
	s_xor_b64 s[6:7], s[2:3], s[20:21]
	v_cvt_f32_u32_e32 v1, s6
	v_cvt_f32_u32_e32 v5, s7
	s_sub_u32 s21, 0, s6
	s_subb_u32 s22, 0, s7
	v_mac_f32_e32 v1, 0x4f800000, v5
	v_rcp_f32_e32 v1, v1
	v_mul_f32_e32 v1, 0x5f7ffffc, v1
	v_mul_f32_e32 v5, 0x2f800000, v1
	v_trunc_f32_e32 v5, v5
	v_mac_f32_e32 v1, 0xcf800000, v5
	v_cvt_u32_f32_e32 v5, v5
	v_cvt_u32_f32_e32 v1, v1
	v_readfirstlane_b32 s23, v5
	v_readfirstlane_b32 s2, v1
	s_mul_i32 s3, s21, s23
	s_mul_hi_u32 s25, s21, s2
	s_mul_i32 s24, s22, s2
	s_add_i32 s3, s25, s3
	s_add_i32 s3, s3, s24
	s_mul_i32 s26, s21, s2
	s_mul_i32 s25, s2, s3
	s_mul_hi_u32 s27, s2, s26
	s_mul_hi_u32 s24, s2, s3
	s_add_u32 s25, s27, s25
	s_addc_u32 s24, 0, s24
	s_mul_hi_u32 s28, s23, s26
	s_mul_i32 s26, s23, s26
	s_add_u32 s25, s25, s26
	s_mul_hi_u32 s27, s23, s3
	s_addc_u32 s24, s24, s28
	s_addc_u32 s25, s27, 0
	s_mul_i32 s3, s23, s3
	s_add_u32 s3, s24, s3
	s_addc_u32 s24, 0, s25
	s_add_u32 s25, s2, s3
	s_cselect_b64 s[2:3], -1, 0
	s_cmp_lg_u64 s[2:3], 0
	s_addc_u32 s23, s23, s24
	s_mul_i32 s2, s21, s23
	s_mul_hi_u32 s3, s21, s25
	s_add_i32 s2, s3, s2
	s_mul_i32 s22, s22, s25
	s_add_i32 s2, s2, s22
	s_mul_i32 s21, s21, s25
	s_mul_hi_u32 s22, s23, s21
	s_mul_i32 s24, s23, s21
	s_mul_i32 s27, s25, s2
	s_mul_hi_u32 s21, s25, s21
	s_mul_hi_u32 s26, s25, s2
	s_add_u32 s21, s21, s27
	s_addc_u32 s26, 0, s26
	s_add_u32 s21, s21, s24
	s_mul_hi_u32 s3, s23, s2
	s_addc_u32 s21, s26, s22
	s_addc_u32 s3, s3, 0
	s_mul_i32 s2, s23, s2
	s_add_u32 s2, s21, s2
	s_addc_u32 s21, 0, s3
	s_add_u32 s22, s25, s2
	s_cselect_b64 s[2:3], -1, 0
	v_ashrrev_i32_e32 v1, 31, v4
	s_cmp_lg_u64 s[2:3], 0
	v_add_co_u32_e32 v3, vcc, v3, v1
	s_addc_u32 s21, s23, s21
	v_xor_b32_e32 v7, v3, v1
	v_addc_co_u32_e32 v5, vcc, v4, v1, vcc
	v_mad_u64_u32 v[3:4], s[2:3], v7, s21, 0
	v_mul_hi_u32 v6, v7, s22
	v_xor_b32_e32 v8, v5, v1
	v_xor_b32_e32 v1, s20, v1
	v_add_co_u32_e32 v9, vcc, v6, v3
	v_addc_co_u32_e32 v10, vcc, 0, v4, vcc
	v_mad_u64_u32 v[3:4], s[2:3], v8, s22, 0
	v_mad_u64_u32 v[5:6], s[2:3], v8, s21, 0
	v_add_co_u32_e32 v3, vcc, v9, v3
	v_addc_co_u32_e32 v3, vcc, v10, v4, vcc
	v_addc_co_u32_e32 v4, vcc, 0, v6, vcc
	v_add_co_u32_e32 v5, vcc, v3, v5
	v_addc_co_u32_e32 v3, vcc, 0, v4, vcc
	v_mul_lo_u32 v6, s7, v5
	v_mul_lo_u32 v9, s6, v3
	v_mad_u64_u32 v[3:4], s[2:3], s6, v5, 0
	v_add3_u32 v4, v4, v9, v6
	v_sub_u32_e32 v6, v8, v4
	v_mov_b32_e32 v9, s7
	v_sub_co_u32_e32 v3, vcc, v7, v3
	v_subb_co_u32_e64 v6, s[2:3], v6, v9, vcc
	v_subrev_co_u32_e64 v7, s[2:3], s6, v3
	v_subbrev_co_u32_e64 v6, s[2:3], 0, v6, s[2:3]
	v_cmp_le_u32_e64 s[2:3], s7, v6
	v_subb_co_u32_e32 v4, vcc, v8, v4, vcc
	v_cndmask_b32_e64 v9, 0, -1, s[2:3]
	v_cmp_le_u32_e64 s[2:3], s6, v7
	v_cmp_le_u32_e32 vcc, s7, v4
	v_cndmask_b32_e64 v7, 0, -1, s[2:3]
	v_cmp_eq_u32_e64 s[2:3], s7, v6
	v_cndmask_b32_e64 v8, 0, -1, vcc
	v_cmp_le_u32_e32 vcc, s6, v3
	v_cndmask_b32_e64 v6, v9, v7, s[2:3]
	v_cndmask_b32_e64 v3, 0, -1, vcc
	v_cmp_eq_u32_e32 vcc, s7, v4
	v_add_co_u32_e64 v7, s[2:3], 2, v5
	v_add_co_u32_e64 v9, s[2:3], 1, v5
	v_cndmask_b32_e32 v3, v8, v3, vcc
	v_cmp_ne_u32_e32 vcc, 0, v6
	v_cndmask_b32_e32 v4, v9, v7, vcc
	v_cmp_ne_u32_e32 vcc, 0, v3
	v_cndmask_b32_e32 v3, v5, v4, vcc
	v_xor_b32_e32 v3, v3, v1
	v_sub_co_u32_e32 v5, vcc, v3, v1
                                        ; implicit-def: $vgpr3_vgpr4
	s_andn2_saveexec_b64 s[2:3], s[4:5]
	s_cbranch_execz .LBB4_5
.LBB4_7:                                ;   in Loop: Header=BB4_3 Depth=1
	v_cvt_f32_u32_e32 v1, s42
	s_sub_i32 s4, 0, s42
	v_rcp_iflag_f32_e32 v1, v1
	v_mul_f32_e32 v1, 0x4f7ffffe, v1
	v_cvt_u32_f32_e32 v1, v1
	v_mul_lo_u32 v4, s4, v1
	v_mul_hi_u32 v4, v1, v4
	v_add_u32_e32 v1, v1, v4
	v_mul_hi_u32 v1, v3, v1
	v_mul_lo_u32 v4, v1, s42
	v_add_u32_e32 v5, 1, v1
	v_sub_u32_e32 v3, v3, v4
	v_subrev_u32_e32 v4, s42, v3
	v_cmp_le_u32_e32 vcc, s42, v3
	v_cndmask_b32_e32 v3, v3, v4, vcc
	v_cndmask_b32_e32 v1, v1, v5, vcc
	v_add_u32_e32 v4, 1, v1
	v_cmp_le_u32_e32 vcc, s42, v3
	v_cndmask_b32_e32 v5, v1, v4, vcc
	s_or_b64 exec, exec, s[2:3]
	s_and_saveexec_b64 s[22:23], s[0:1]
	s_cbranch_execz .LBB4_2
.LBB4_8:                                ;   in Loop: Header=BB4_3 Depth=1
	v_sub_u32_e32 v1, 0, v13
	v_max_i32_e32 v1, v13, v1
	v_mul_hi_u32 v3, v1, v14
	v_ashrrev_i32_e32 v6, 31, v13
	v_xor_b32_e32 v6, s39, v6
	s_mov_b64 s[24:25], 0
	v_mul_lo_u32 v4, v3, s40
	v_add_u32_e32 v7, 1, v3
	v_sub_u32_e32 v1, v1, v4
	v_cmp_le_u32_e32 vcc, s40, v1
	v_subrev_u32_e32 v4, s40, v1
	v_cndmask_b32_e32 v3, v3, v7, vcc
	v_cndmask_b32_e32 v1, v1, v4, vcc
	v_add_u32_e32 v4, 1, v3
	v_cmp_le_u32_e32 vcc, s40, v1
	v_cndmask_b32_e32 v1, v3, v4, vcc
	v_xor_b32_e32 v1, v1, v6
	v_sub_u32_e32 v4, v1, v6
	v_mul_lo_u32 v1, v4, s10
	v_sub_u32_e32 v1, v13, v1
	v_mul_lo_u32 v1, v1, s8
	v_sub_u32_e32 v3, 0, v1
	v_max_i32_e32 v6, v1, v3
	v_mul_hi_u32 v7, v6, v14
	v_ashrrev_i32_e32 v1, 31, v1
	v_xor_b32_e32 v1, s39, v1
	v_mul_lo_u32 v3, v13, s11
	v_mul_lo_u32 v8, v7, s40
	v_add_u32_e32 v9, 1, v7
	v_sub_u32_e32 v6, v6, v8
	v_cmp_le_u32_e32 vcc, s40, v6
	v_subrev_u32_e32 v8, s40, v6
	v_cndmask_b32_e32 v7, v7, v9, vcc
	v_cndmask_b32_e32 v6, v6, v8, vcc
	v_add_u32_e32 v8, 1, v7
	v_cmp_le_u32_e32 vcc, s40, v6
	v_cndmask_b32_e32 v6, v7, v8, vcc
	v_xor_b32_e32 v6, v6, v1
	v_sub_u32_e32 v1, v6, v1
	v_mad_u64_u32 v[6:7], s[2:3], v4, s8, v[1:2]
	v_ashrrev_i32_e32 v4, 31, v3
	v_lshlrev_b64 v[7:8], 3, v[3:4]
	v_ashrrev_i32_e32 v3, 31, v6
	v_mul_lo_u32 v9, s14, v3
	v_mov_b32_e32 v3, s12
	v_sub_u32_e32 v16, v5, v6
	v_mov_b32_e32 v4, s13
	v_add_u32_e32 v5, 1, v16
	v_mul_lo_u32 v10, s15, v6
	v_mad_u64_u32 v[3:4], s[2:3], s14, v6, v[3:4]
	v_cvt_f64_i32_e32 v[5:6], v5
	v_mov_b32_e32 v1, s36
	v_add_co_u32_e32 v17, vcc, s33, v7
	v_addc_co_u32_e32 v18, vcc, v1, v8, vcc
	v_cmp_gt_u32_e64 s[2:3], s47, v16
	v_add3_u32 v4, v10, v4, v9
	v_mov_b32_e32 v1, v0
	s_branch .LBB4_11
.LBB4_9:                                ;   in Loop: Header=BB4_11 Depth=2
	s_or_b64 exec, exec, s[28:29]
.LBB4_10:                               ;   in Loop: Header=BB4_11 Depth=2
	s_or_b64 exec, exec, s[26:27]
	v_div_scale_f64 v[9:10], s[4:5], v[5:6], v[5:6], v[7:8]
	v_rcp_f64_e32 v[11:12], v[9:10]
	v_fma_f64 v[20:21], -v[9:10], v[11:12], 1.0
	v_fma_f64 v[11:12], v[11:12], v[20:21], v[11:12]
	v_div_scale_f64 v[20:21], vcc, v[7:8], v[5:6], v[7:8]
	v_fma_f64 v[22:23], -v[9:10], v[11:12], 1.0
	v_fma_f64 v[11:12], v[11:12], v[22:23], v[11:12]
	v_mul_f64 v[22:23], v[20:21], v[11:12]
	v_fma_f64 v[9:10], -v[9:10], v[22:23], v[20:21]
	v_div_fmas_f64 v[9:10], v[9:10], v[11:12], v[22:23]
	v_div_fixup_f64 v[7:8], v[9:10], v[5:6], v[7:8]
	v_add_u32_e32 v9, 1, v19
	v_cvt_f64_i32_e32 v[9:10], v9
	v_div_scale_f64 v[11:12], s[4:5], v[9:10], v[9:10], v[7:8]
	v_div_scale_f64 v[23:24], vcc, v[7:8], v[9:10], v[7:8]
	v_rcp_f64_e32 v[19:20], v[11:12]
	v_fma_f64 v[21:22], -v[11:12], v[19:20], 1.0
	v_fma_f64 v[19:20], v[19:20], v[21:22], v[19:20]
	v_fma_f64 v[21:22], -v[11:12], v[19:20], 1.0
	v_fma_f64 v[19:20], v[19:20], v[21:22], v[19:20]
	v_mul_f64 v[21:22], v[23:24], v[19:20]
	v_fma_f64 v[11:12], -v[11:12], v[21:22], v[23:24]
	v_div_fmas_f64 v[11:12], v[11:12], v[19:20], v[21:22]
	v_lshlrev_b64 v[19:20], 3, v[1:2]
	v_add_u32_e32 v1, s38, v1
	v_div_fixup_f64 v[7:8], v[11:12], v[9:10], v[7:8]
	v_add_co_u32_e32 v9, vcc, v17, v19
	v_addc_co_u32_e32 v10, vcc, v18, v20, vcc
	v_cmp_le_i32_e32 vcc, s11, v1
	s_or_b64 s[24:25], vcc, s[24:25]
	global_store_dwordx2 v[9:10], v[7:8], off
	s_andn2_b64 exec, exec, s[24:25]
	s_cbranch_execz .LBB4_2
.LBB4_11:                               ;   Parent Loop BB4_3 Depth=1
                                        ; =>  This Loop Header: Depth=2
                                        ;       Child Loop BB4_18 Depth 3
                                        ;         Child Loop BB4_20 Depth 4
	v_add_u32_e32 v9, 1, v1
	v_mad_u64_u32 v[7:8], s[4:5], v9, s44, -1
	v_mad_u64_u32 v[8:9], s[4:5], v9, s43, v[8:9]
	v_mov_b32_e32 v9, v2
	v_or_b32_e32 v10, s45, v8
	v_cmp_ne_u64_e32 vcc, 0, v[9:10]
                                        ; implicit-def: $vgpr9_vgpr10
	s_and_saveexec_b64 s[4:5], vcc
	s_xor_b64 s[6:7], exec, s[4:5]
	s_cbranch_execz .LBB4_13
; %bb.12:                               ;   in Loop: Header=BB4_11 Depth=2
	s_ashr_i32 s26, s45, 31
	s_add_u32 s4, s46, s26
	s_mov_b32 s27, s26
	s_addc_u32 s5, s45, s26
	s_xor_b64 s[28:29], s[4:5], s[26:27]
	v_cvt_f32_u32_e32 v9, s28
	v_cvt_f32_u32_e32 v10, s29
	s_sub_u32 s21, 0, s28
	s_subb_u32 s27, 0, s29
	v_ashrrev_i32_e32 v11, 31, v8
	v_mac_f32_e32 v9, 0x4f800000, v10
	v_rcp_f32_e32 v9, v9
	v_add_co_u32_e32 v7, vcc, v7, v11
	v_xor_b32_e32 v12, v7, v11
	v_mul_f32_e32 v9, 0x5f7ffffc, v9
	v_mul_f32_e32 v10, 0x2f800000, v9
	v_trunc_f32_e32 v10, v10
	v_mac_f32_e32 v9, 0xcf800000, v10
	v_cvt_u32_f32_e32 v10, v10
	v_cvt_u32_f32_e32 v9, v9
	v_readfirstlane_b32 s30, v10
	v_readfirstlane_b32 s4, v9
	s_mul_i32 s5, s21, s30
	s_mul_hi_u32 s34, s21, s4
	s_mul_i32 s31, s27, s4
	s_add_i32 s5, s34, s5
	s_add_i32 s5, s5, s31
	s_mul_i32 s35, s21, s4
	s_mul_i32 s34, s4, s5
	s_mul_hi_u32 s48, s4, s35
	s_mul_hi_u32 s31, s4, s5
	s_add_u32 s34, s48, s34
	s_addc_u32 s31, 0, s31
	s_mul_hi_u32 s49, s30, s35
	s_mul_i32 s35, s30, s35
	s_add_u32 s34, s34, s35
	s_mul_hi_u32 s48, s30, s5
	s_addc_u32 s31, s31, s49
	s_addc_u32 s34, s48, 0
	s_mul_i32 s5, s30, s5
	s_add_u32 s5, s31, s5
	s_addc_u32 s31, 0, s34
	s_add_u32 s34, s4, s5
	s_cselect_b64 s[4:5], -1, 0
	s_cmp_lg_u64 s[4:5], 0
	s_addc_u32 s30, s30, s31
	s_mul_i32 s4, s21, s30
	s_mul_hi_u32 s5, s21, s34
	s_add_i32 s4, s5, s4
	s_mul_i32 s27, s27, s34
	s_add_i32 s4, s4, s27
	s_mul_i32 s21, s21, s34
	s_mul_hi_u32 s27, s30, s21
	s_mul_i32 s31, s30, s21
	s_mul_i32 s48, s34, s4
	s_mul_hi_u32 s21, s34, s21
	s_mul_hi_u32 s35, s34, s4
	s_add_u32 s21, s21, s48
	s_addc_u32 s35, 0, s35
	s_add_u32 s21, s21, s31
	s_mul_hi_u32 s5, s30, s4
	s_addc_u32 s21, s35, s27
	s_addc_u32 s5, s5, 0
	s_mul_i32 s4, s30, s4
	s_add_u32 s4, s21, s4
	s_addc_u32 s21, 0, s5
	s_add_u32 s27, s34, s4
	s_cselect_b64 s[4:5], -1, 0
	s_cmp_lg_u64 s[4:5], 0
	s_addc_u32 s21, s30, s21
	v_addc_co_u32_e32 v9, vcc, v8, v11, vcc
	v_mad_u64_u32 v[7:8], s[4:5], v12, s21, 0
	v_mul_hi_u32 v10, v12, s27
	v_xor_b32_e32 v19, v9, v11
	v_add_co_u32_e32 v20, vcc, v10, v7
	v_addc_co_u32_e32 v21, vcc, 0, v8, vcc
	v_mad_u64_u32 v[7:8], s[4:5], v19, s27, 0
	v_mad_u64_u32 v[9:10], s[4:5], v19, s21, 0
	v_add_co_u32_e32 v7, vcc, v20, v7
	v_addc_co_u32_e32 v7, vcc, v21, v8, vcc
	v_addc_co_u32_e32 v8, vcc, 0, v10, vcc
	v_add_co_u32_e32 v9, vcc, v7, v9
	v_addc_co_u32_e32 v7, vcc, 0, v8, vcc
	v_mul_lo_u32 v10, s29, v9
	v_mul_lo_u32 v20, s28, v7
	v_mad_u64_u32 v[7:8], s[4:5], s28, v9, 0
	v_add3_u32 v8, v8, v20, v10
	v_sub_u32_e32 v10, v19, v8
	v_mov_b32_e32 v20, s29
	v_sub_co_u32_e32 v7, vcc, v12, v7
	v_subb_co_u32_e64 v10, s[4:5], v10, v20, vcc
	v_subrev_co_u32_e64 v12, s[4:5], s28, v7
	v_subbrev_co_u32_e64 v10, s[4:5], 0, v10, s[4:5]
	v_cmp_le_u32_e64 s[4:5], s29, v10
	v_subb_co_u32_e32 v8, vcc, v19, v8, vcc
	v_cndmask_b32_e64 v20, 0, -1, s[4:5]
	v_cmp_le_u32_e64 s[4:5], s28, v12
	v_cmp_le_u32_e32 vcc, s29, v8
	v_cndmask_b32_e64 v12, 0, -1, s[4:5]
	v_cmp_eq_u32_e64 s[4:5], s29, v10
	v_cndmask_b32_e64 v19, 0, -1, vcc
	v_cmp_le_u32_e32 vcc, s28, v7
	v_cndmask_b32_e64 v10, v20, v12, s[4:5]
	v_cndmask_b32_e64 v7, 0, -1, vcc
	v_cmp_eq_u32_e32 vcc, s29, v8
	v_add_co_u32_e64 v12, s[4:5], 2, v9
	v_add_co_u32_e64 v20, s[4:5], 1, v9
	v_cndmask_b32_e32 v7, v19, v7, vcc
	v_cmp_ne_u32_e32 vcc, 0, v10
	v_cndmask_b32_e32 v8, v20, v12, vcc
	v_cmp_ne_u32_e32 vcc, 0, v7
	v_cndmask_b32_e32 v7, v9, v8, vcc
	v_xor_b32_e32 v8, s26, v11
	v_xor_b32_e32 v7, v7, v8
	v_sub_co_u32_e32 v9, vcc, v7, v8
                                        ; implicit-def: $vgpr7_vgpr8
.LBB4_13:                               ;   in Loop: Header=BB4_11 Depth=2
	s_andn2_saveexec_b64 s[4:5], s[6:7]
	s_cbranch_execz .LBB4_15
; %bb.14:                               ;   in Loop: Header=BB4_11 Depth=2
	v_cvt_f32_u32_e32 v8, s46
	s_sub_i32 s6, 0, s46
	v_rcp_iflag_f32_e32 v8, v8
	v_mul_f32_e32 v8, 0x4f7ffffe, v8
	v_cvt_u32_f32_e32 v8, v8
	v_mul_lo_u32 v9, s6, v8
	v_mul_hi_u32 v9, v8, v9
	v_add_u32_e32 v8, v8, v9
	v_mul_hi_u32 v8, v7, v8
	v_mul_lo_u32 v9, v8, s46
	v_add_u32_e32 v10, 1, v8
	v_sub_u32_e32 v7, v7, v9
	v_subrev_u32_e32 v9, s46, v7
	v_cmp_le_u32_e32 vcc, s46, v7
	v_cndmask_b32_e32 v7, v7, v9, vcc
	v_cndmask_b32_e32 v8, v8, v10, vcc
	v_add_u32_e32 v9, 1, v8
	v_cmp_le_u32_e32 vcc, s46, v7
	v_cndmask_b32_e32 v9, v8, v9, vcc
.LBB4_15:                               ;   in Loop: Header=BB4_11 Depth=2
	s_or_b64 exec, exec, s[4:5]
	v_mul_hi_u32 v7, v1, v15
	v_mul_lo_u32 v8, v1, s9
	v_mul_lo_u32 v10, v7, s41
	v_sub_u32_e32 v12, 0, v8
	v_max_i32_e32 v12, v8, v12
	v_add_u32_e32 v11, 1, v7
	v_sub_u32_e32 v10, v1, v10
	v_cmp_le_u32_e32 vcc, s41, v10
	v_mul_hi_u32 v19, v12, v15
	v_cndmask_b32_e32 v7, v7, v11, vcc
	v_subrev_u32_e32 v11, s41, v10
	v_cndmask_b32_e32 v10, v10, v11, vcc
	v_add_u32_e32 v11, 1, v7
	v_cmp_le_u32_e32 vcc, s41, v10
	v_cndmask_b32_e32 v7, v7, v11, vcc
	v_mul_lo_u32 v20, v19, s41
	v_xor_b32_e32 v7, s45, v7
	v_subrev_u32_e32 v7, s45, v7
	v_mul_lo_u32 v11, v7, s9
	v_ashrrev_i32_e32 v7, 31, v8
	v_xor_b32_e32 v10, s45, v7
	v_sub_u32_e32 v7, v12, v20
	v_add_u32_e32 v8, 1, v19
	v_cmp_le_u32_e32 vcc, s41, v7
	v_subrev_u32_e32 v12, s41, v7
	v_cndmask_b32_e32 v8, v19, v8, vcc
	v_cndmask_b32_e32 v7, v7, v12, vcc
	v_add_u32_e32 v12, 1, v8
	v_cmp_le_u32_e32 vcc, s41, v7
	v_cndmask_b32_e32 v7, v8, v12, vcc
	v_xor_b32_e32 v12, v7, v10
	v_sub_u32_e32 v7, v12, v10
	v_add_u32_e32 v20, v7, v11
	v_mov_b32_e32 v7, 0
	v_mov_b32_e32 v8, 0
	v_sub_u32_e32 v19, v9, v20
	s_and_saveexec_b64 s[26:27], s[2:3]
	s_cbranch_execz .LBB4_10
; %bb.16:                               ;   in Loop: Header=BB4_11 Depth=2
	v_ashrrev_i32_e32 v7, 31, v20
	v_add_u32_e32 v8, v10, v9
	v_mad_u64_u32 v[9:10], s[4:5], s16, v20, v[3:4]
	v_mul_lo_u32 v21, s17, v20
	v_mul_lo_u32 v7, s16, v7
	v_sub_u32_e32 v8, v8, v11
	v_sub_u32_e32 v8, v8, v12
	v_add_u32_e32 v20, 1, v8
	v_add3_u32 v10, v21, v10, v7
	v_mov_b32_e32 v7, 0
	v_cmp_gt_u32_e32 vcc, s47, v19
	v_mov_b32_e32 v8, 0
	s_mov_b32 s21, 0
	s_mov_b64 s[28:29], 0
	s_branch .LBB4_18
.LBB4_17:                               ;   in Loop: Header=BB4_18 Depth=3
	s_or_b64 exec, exec, s[30:31]
	v_mov_b32_e32 v11, s15
	v_add_co_u32_e64 v9, s[4:5], s14, v9
	v_addc_co_u32_e64 v10, s[4:5], v10, v11, s[4:5]
	s_add_i32 s6, s21, 1
	v_cmp_eq_u32_e64 s[4:5], s21, v16
	s_or_b64 s[28:29], s[4:5], s[28:29]
	s_mov_b32 s21, s6
	s_andn2_b64 exec, exec, s[28:29]
	s_cbranch_execz .LBB4_9
.LBB4_18:                               ;   Parent Loop BB4_3 Depth=1
                                        ;     Parent Loop BB4_11 Depth=2
                                        ; =>    This Loop Header: Depth=3
                                        ;         Child Loop BB4_20 Depth 4
	s_and_saveexec_b64 s[30:31], vcc
	s_cbranch_execz .LBB4_17
; %bb.19:                               ;   in Loop: Header=BB4_18 Depth=3
	v_mov_b32_e32 v12, v10
	s_mov_b64 s[34:35], 0
	v_mov_b32_e32 v11, v9
	v_mov_b32_e32 v21, v20
.LBB4_20:                               ;   Parent Loop BB4_3 Depth=1
                                        ;     Parent Loop BB4_11 Depth=2
                                        ;       Parent Loop BB4_18 Depth=3
                                        ; =>      This Inner Loop Header: Depth=4
	global_load_dwordx2 v[22:23], v[11:12], off
	v_add_u32_e32 v21, -1, v21
	v_add_co_u32_e64 v11, s[4:5], s16, v11
	v_cmp_eq_u32_e64 s[6:7], 0, v21
	s_or_b64 s[34:35], s[6:7], s[34:35]
	s_waitcnt vmcnt(0)
	v_add_f64 v[7:8], v[7:8], v[22:23]
	v_mov_b32_e32 v22, s17
	v_addc_co_u32_e64 v12, s[4:5], v12, v22, s[4:5]
	s_andn2_b64 exec, exec, s[34:35]
	s_cbranch_execnz .LBB4_20
; %bb.21:                               ;   in Loop: Header=BB4_18 Depth=3
	s_or_b64 exec, exec, s[34:35]
	s_branch .LBB4_17
.LBB4_22:
	s_endpgm
	.section	.rodata,"a",@progbits
	.p2align	6, 0x0
	.amdhsa_kernel _ZN2at6native12_GLOBAL__N_121adaptive_average_poolIdEEvPKT_PS3_iiiilll
		.amdhsa_group_segment_fixed_size 0
		.amdhsa_private_segment_fixed_size 0
		.amdhsa_kernarg_size 312
		.amdhsa_user_sgpr_count 6
		.amdhsa_user_sgpr_private_segment_buffer 1
		.amdhsa_user_sgpr_dispatch_ptr 0
		.amdhsa_user_sgpr_queue_ptr 0
		.amdhsa_user_sgpr_kernarg_segment_ptr 1
		.amdhsa_user_sgpr_dispatch_id 0
		.amdhsa_user_sgpr_flat_scratch_init 0
		.amdhsa_user_sgpr_private_segment_size 0
		.amdhsa_uses_dynamic_stack 0
		.amdhsa_system_sgpr_private_segment_wavefront_offset 0
		.amdhsa_system_sgpr_workgroup_id_x 1
		.amdhsa_system_sgpr_workgroup_id_y 1
		.amdhsa_system_sgpr_workgroup_id_z 0
		.amdhsa_system_sgpr_workgroup_info 0
		.amdhsa_system_vgpr_workitem_id 1
		.amdhsa_next_free_vgpr 25
		.amdhsa_next_free_sgpr 50
		.amdhsa_reserve_vcc 1
		.amdhsa_reserve_flat_scratch 0
		.amdhsa_float_round_mode_32 0
		.amdhsa_float_round_mode_16_64 0
		.amdhsa_float_denorm_mode_32 3
		.amdhsa_float_denorm_mode_16_64 3
		.amdhsa_dx10_clamp 1
		.amdhsa_ieee_mode 1
		.amdhsa_fp16_overflow 0
		.amdhsa_exception_fp_ieee_invalid_op 0
		.amdhsa_exception_fp_denorm_src 0
		.amdhsa_exception_fp_ieee_div_zero 0
		.amdhsa_exception_fp_ieee_overflow 0
		.amdhsa_exception_fp_ieee_underflow 0
		.amdhsa_exception_fp_ieee_inexact 0
		.amdhsa_exception_int_div_zero 0
	.end_amdhsa_kernel
	.section	.text._ZN2at6native12_GLOBAL__N_121adaptive_average_poolIdEEvPKT_PS3_iiiilll,"axG",@progbits,_ZN2at6native12_GLOBAL__N_121adaptive_average_poolIdEEvPKT_PS3_iiiilll,comdat
.Lfunc_end4:
	.size	_ZN2at6native12_GLOBAL__N_121adaptive_average_poolIdEEvPKT_PS3_iiiilll, .Lfunc_end4-_ZN2at6native12_GLOBAL__N_121adaptive_average_poolIdEEvPKT_PS3_iiiilll
                                        ; -- End function
	.set _ZN2at6native12_GLOBAL__N_121adaptive_average_poolIdEEvPKT_PS3_iiiilll.num_vgpr, 25
	.set _ZN2at6native12_GLOBAL__N_121adaptive_average_poolIdEEvPKT_PS3_iiiilll.num_agpr, 0
	.set _ZN2at6native12_GLOBAL__N_121adaptive_average_poolIdEEvPKT_PS3_iiiilll.numbered_sgpr, 50
	.set _ZN2at6native12_GLOBAL__N_121adaptive_average_poolIdEEvPKT_PS3_iiiilll.num_named_barrier, 0
	.set _ZN2at6native12_GLOBAL__N_121adaptive_average_poolIdEEvPKT_PS3_iiiilll.private_seg_size, 0
	.set _ZN2at6native12_GLOBAL__N_121adaptive_average_poolIdEEvPKT_PS3_iiiilll.uses_vcc, 1
	.set _ZN2at6native12_GLOBAL__N_121adaptive_average_poolIdEEvPKT_PS3_iiiilll.uses_flat_scratch, 0
	.set _ZN2at6native12_GLOBAL__N_121adaptive_average_poolIdEEvPKT_PS3_iiiilll.has_dyn_sized_stack, 0
	.set _ZN2at6native12_GLOBAL__N_121adaptive_average_poolIdEEvPKT_PS3_iiiilll.has_recursion, 0
	.set _ZN2at6native12_GLOBAL__N_121adaptive_average_poolIdEEvPKT_PS3_iiiilll.has_indirect_call, 0
	.section	.AMDGPU.csdata,"",@progbits
; Kernel info:
; codeLenInByte = 2708
; TotalNumSgprs: 54
; NumVgprs: 25
; ScratchSize: 0
; MemoryBound: 0
; FloatMode: 240
; IeeeMode: 1
; LDSByteSize: 0 bytes/workgroup (compile time only)
; SGPRBlocks: 6
; VGPRBlocks: 6
; NumSGPRsForWavesPerEU: 54
; NumVGPRsForWavesPerEU: 25
; Occupancy: 9
; WaveLimiterHint : 0
; COMPUTE_PGM_RSRC2:SCRATCH_EN: 0
; COMPUTE_PGM_RSRC2:USER_SGPR: 6
; COMPUTE_PGM_RSRC2:TRAP_HANDLER: 0
; COMPUTE_PGM_RSRC2:TGID_X_EN: 1
; COMPUTE_PGM_RSRC2:TGID_Y_EN: 1
; COMPUTE_PGM_RSRC2:TGID_Z_EN: 0
; COMPUTE_PGM_RSRC2:TIDIG_COMP_CNT: 1
	.section	.text._ZN2at6native12_GLOBAL__N_121adaptive_average_poolIfEEvPKT_PS3_iiiilll,"axG",@progbits,_ZN2at6native12_GLOBAL__N_121adaptive_average_poolIfEEvPKT_PS3_iiiilll,comdat
	.globl	_ZN2at6native12_GLOBAL__N_121adaptive_average_poolIfEEvPKT_PS3_iiiilll ; -- Begin function _ZN2at6native12_GLOBAL__N_121adaptive_average_poolIfEEvPKT_PS3_iiiilll
	.p2align	8
	.type	_ZN2at6native12_GLOBAL__N_121adaptive_average_poolIfEEvPKT_PS3_iiiilll,@function
_ZN2at6native12_GLOBAL__N_121adaptive_average_poolIfEEvPKT_PS3_iiiilll: ; @_ZN2at6native12_GLOBAL__N_121adaptive_average_poolIfEEvPKT_PS3_iiiilll
; %bb.0:
	s_load_dword s2, s[4:5], 0x44
	s_load_dwordx4 s[8:11], s[4:5], 0x10
	s_add_u32 s0, s4, 56
	s_addc_u32 s1, s5, 0
	s_waitcnt lgkmcnt(0)
	s_lshr_b32 s3, s2, 16
	s_mul_i32 s7, s7, s3
	v_add_u32_e32 v9, s7, v1
	v_cmp_gt_i32_e32 vcc, s10, v9
	s_and_saveexec_b64 s[12:13], vcc
	s_cbranch_execz .LBB5_22
; %bb.1:
	s_load_dwordx4 s[16:19], s[4:5], 0x0
	s_load_dwordx4 s[12:15], s[4:5], 0x20
	s_load_dwordx2 s[20:21], s[4:5], 0x30
	s_mul_i32 s4, s10, s6
	s_mul_i32 s4, s4, s11
	s_ashr_i32 s5, s4, 31
	s_load_dword s35, s[0:1], 0x4
	s_lshl_b64 s[0:1], s[4:5], 2
	s_waitcnt lgkmcnt(0)
	s_add_u32 s33, s18, s0
	s_addc_u32 s34, s19, s1
	s_abs_i32 s38, s10
	v_cvt_f32_u32_e32 v1, s38
	s_abs_i32 s39, s11
	v_cvt_f32_u32_e32 v2, s39
	s_and_b32 s36, s2, 0xffff
	v_rcp_iflag_f32_e32 v1, v1
	s_sub_i32 s2, 0, s38
	v_rcp_iflag_f32_e32 v2, v2
	s_ashr_i32 s4, s6, 31
	v_mul_f32_e32 v1, 0x4f7ffffe, v1
	v_cvt_u32_f32_e32 v1, v1
	v_mul_f32_e32 v2, 0x4f7ffffe, v2
	v_cvt_u32_f32_e32 v3, v2
	s_mul_i32 s35, s35, s3
	v_mul_lo_u32 v2, s2, v1
	s_sub_i32 s2, 0, s39
	v_mul_lo_u32 v4, s2, v3
	s_mul_hi_u32 s2, s12, s6
	s_mul_i32 s3, s12, s4
	v_mul_hi_u32 v2, v1, v2
	v_mul_hi_u32 v4, v3, v4
	s_add_i32 s2, s2, s3
	s_mul_i32 s3, s13, s6
	s_add_i32 s3, s2, s3
	s_mul_i32 s2, s12, s6
	s_ashr_i32 s37, s10, 31
	s_ashr_i32 s41, s9, 31
	;; [unrolled: 1-line block ×3, first 2 shown]
	s_lshl_b64 s[2:3], s[2:3], 2
	s_add_u32 s6, s16, s2
	s_mov_b32 s40, s10
	v_cmp_gt_i32_e64 s[0:1], s11, v0
	s_mov_b32 s42, s9
	s_mov_b32 s44, s11
	v_add_u32_e32 v10, v1, v2
	v_mov_b32_e32 v2, 0
	v_add_u32_e32 v11, v3, v4
	s_addc_u32 s7, s17, s3
	s_lshl_b64 s[12:13], s[14:15], 2
	s_lshl_b64 s[14:15], s[20:21], 2
	s_mov_b64 s[16:17], 0
	s_brev_b32 s45, -2
	s_ashr_i32 s18, s37, 31
	s_branch .LBB5_3
.LBB5_2:                                ;   in Loop: Header=BB5_3 Depth=1
	s_or_b64 exec, exec, s[20:21]
	v_add_u32_e32 v9, s35, v9
	v_cmp_le_i32_e32 vcc, s10, v9
	s_or_b64 s[16:17], vcc, s[16:17]
	s_andn2_b64 exec, exec, s[16:17]
	s_cbranch_execz .LBB5_22
.LBB5_3:                                ; =>This Loop Header: Depth=1
                                        ;     Child Loop BB5_11 Depth 2
                                        ;       Child Loop BB5_18 Depth 3
                                        ;         Child Loop BB5_20 Depth 4
	v_add_u32_e32 v1, 1, v9
	v_mad_i64_i32 v[3:4], s[2:3], v1, s8, -1
	v_mov_b32_e32 v5, v2
	v_or_b32_e32 v6, s37, v4
	v_cmp_ne_u64_e32 vcc, 0, v[5:6]
                                        ; implicit-def: $vgpr5_vgpr6
	s_and_saveexec_b64 s[2:3], vcc
	s_xor_b64 s[4:5], exec, s[2:3]
	s_cbranch_execnz .LBB5_6
; %bb.4:                                ;   in Loop: Header=BB5_3 Depth=1
	s_andn2_saveexec_b64 s[2:3], s[4:5]
	s_cbranch_execnz .LBB5_7
.LBB5_5:                                ;   in Loop: Header=BB5_3 Depth=1
	s_or_b64 exec, exec, s[2:3]
	s_and_saveexec_b64 s[20:21], s[0:1]
	s_cbranch_execz .LBB5_2
	s_branch .LBB5_8
.LBB5_6:                                ;   in Loop: Header=BB5_3 Depth=1
	s_add_u32 s2, s40, s18
	s_mov_b32 s19, s18
	s_addc_u32 s3, s37, s18
	s_xor_b64 s[20:21], s[2:3], s[18:19]
	v_cvt_f32_u32_e32 v1, s20
	v_cvt_f32_u32_e32 v5, s21
	s_sub_u32 s19, 0, s20
	s_subb_u32 s22, 0, s21
	v_mac_f32_e32 v1, 0x4f800000, v5
	v_rcp_f32_e32 v1, v1
	v_mul_f32_e32 v1, 0x5f7ffffc, v1
	v_mul_f32_e32 v5, 0x2f800000, v1
	v_trunc_f32_e32 v5, v5
	v_mac_f32_e32 v1, 0xcf800000, v5
	v_cvt_u32_f32_e32 v5, v5
	v_cvt_u32_f32_e32 v1, v1
	v_readfirstlane_b32 s23, v5
	v_readfirstlane_b32 s2, v1
	s_mul_i32 s3, s19, s23
	s_mul_hi_u32 s25, s19, s2
	s_mul_i32 s24, s22, s2
	s_add_i32 s3, s25, s3
	s_add_i32 s3, s3, s24
	s_mul_i32 s26, s19, s2
	s_mul_i32 s25, s2, s3
	s_mul_hi_u32 s27, s2, s26
	s_mul_hi_u32 s24, s2, s3
	s_add_u32 s25, s27, s25
	s_addc_u32 s24, 0, s24
	s_mul_hi_u32 s28, s23, s26
	s_mul_i32 s26, s23, s26
	s_add_u32 s25, s25, s26
	s_mul_hi_u32 s27, s23, s3
	s_addc_u32 s24, s24, s28
	s_addc_u32 s25, s27, 0
	s_mul_i32 s3, s23, s3
	s_add_u32 s3, s24, s3
	s_addc_u32 s24, 0, s25
	s_add_u32 s25, s2, s3
	s_cselect_b64 s[2:3], -1, 0
	s_cmp_lg_u64 s[2:3], 0
	s_addc_u32 s23, s23, s24
	s_mul_i32 s2, s19, s23
	s_mul_hi_u32 s3, s19, s25
	s_add_i32 s2, s3, s2
	s_mul_i32 s22, s22, s25
	s_add_i32 s2, s2, s22
	s_mul_i32 s19, s19, s25
	s_mul_hi_u32 s22, s23, s19
	s_mul_i32 s24, s23, s19
	s_mul_i32 s27, s25, s2
	s_mul_hi_u32 s19, s25, s19
	s_mul_hi_u32 s26, s25, s2
	s_add_u32 s19, s19, s27
	s_addc_u32 s26, 0, s26
	s_add_u32 s19, s19, s24
	s_mul_hi_u32 s3, s23, s2
	s_addc_u32 s19, s26, s22
	s_addc_u32 s3, s3, 0
	s_mul_i32 s2, s23, s2
	s_add_u32 s2, s19, s2
	s_addc_u32 s19, 0, s3
	s_add_u32 s22, s25, s2
	s_cselect_b64 s[2:3], -1, 0
	v_ashrrev_i32_e32 v1, 31, v4
	s_cmp_lg_u64 s[2:3], 0
	v_add_co_u32_e32 v3, vcc, v3, v1
	s_addc_u32 s19, s23, s19
	v_xor_b32_e32 v7, v3, v1
	v_addc_co_u32_e32 v5, vcc, v4, v1, vcc
	v_mad_u64_u32 v[3:4], s[2:3], v7, s19, 0
	v_mul_hi_u32 v6, v7, s22
	v_xor_b32_e32 v8, v5, v1
	v_xor_b32_e32 v1, s18, v1
	v_add_co_u32_e32 v12, vcc, v6, v3
	v_addc_co_u32_e32 v13, vcc, 0, v4, vcc
	v_mad_u64_u32 v[3:4], s[2:3], v8, s22, 0
	v_mad_u64_u32 v[5:6], s[2:3], v8, s19, 0
	v_add_co_u32_e32 v3, vcc, v12, v3
	v_addc_co_u32_e32 v3, vcc, v13, v4, vcc
	v_addc_co_u32_e32 v4, vcc, 0, v6, vcc
	v_add_co_u32_e32 v5, vcc, v3, v5
	v_addc_co_u32_e32 v3, vcc, 0, v4, vcc
	v_mul_lo_u32 v6, s21, v5
	v_mul_lo_u32 v12, s20, v3
	v_mad_u64_u32 v[3:4], s[2:3], s20, v5, 0
	v_add3_u32 v4, v4, v12, v6
	v_sub_u32_e32 v6, v8, v4
	v_mov_b32_e32 v12, s21
	v_sub_co_u32_e32 v3, vcc, v7, v3
	v_subb_co_u32_e64 v6, s[2:3], v6, v12, vcc
	v_subrev_co_u32_e64 v7, s[2:3], s20, v3
	v_subbrev_co_u32_e64 v6, s[2:3], 0, v6, s[2:3]
	v_cmp_le_u32_e64 s[2:3], s21, v6
	v_subb_co_u32_e32 v4, vcc, v8, v4, vcc
	v_cndmask_b32_e64 v12, 0, -1, s[2:3]
	v_cmp_le_u32_e64 s[2:3], s20, v7
	v_cmp_le_u32_e32 vcc, s21, v4
	v_cndmask_b32_e64 v7, 0, -1, s[2:3]
	v_cmp_eq_u32_e64 s[2:3], s21, v6
	v_cndmask_b32_e64 v8, 0, -1, vcc
	v_cmp_le_u32_e32 vcc, s20, v3
	v_cndmask_b32_e64 v6, v12, v7, s[2:3]
	v_cndmask_b32_e64 v3, 0, -1, vcc
	v_cmp_eq_u32_e32 vcc, s21, v4
	v_add_co_u32_e64 v7, s[2:3], 2, v5
	v_add_co_u32_e64 v12, s[2:3], 1, v5
	v_cndmask_b32_e32 v3, v8, v3, vcc
	v_cmp_ne_u32_e32 vcc, 0, v6
	v_cndmask_b32_e32 v4, v12, v7, vcc
	v_cmp_ne_u32_e32 vcc, 0, v3
	v_cndmask_b32_e32 v3, v5, v4, vcc
	v_xor_b32_e32 v3, v3, v1
	v_sub_co_u32_e32 v5, vcc, v3, v1
                                        ; implicit-def: $vgpr3_vgpr4
	s_andn2_saveexec_b64 s[2:3], s[4:5]
	s_cbranch_execz .LBB5_5
.LBB5_7:                                ;   in Loop: Header=BB5_3 Depth=1
	v_cvt_f32_u32_e32 v1, s40
	s_sub_i32 s4, 0, s40
	v_rcp_iflag_f32_e32 v1, v1
	v_mul_f32_e32 v1, 0x4f7ffffe, v1
	v_cvt_u32_f32_e32 v1, v1
	v_mul_lo_u32 v4, s4, v1
	v_mul_hi_u32 v4, v1, v4
	v_add_u32_e32 v1, v1, v4
	v_mul_hi_u32 v1, v3, v1
	v_mul_lo_u32 v4, v1, s40
	v_add_u32_e32 v5, 1, v1
	v_sub_u32_e32 v3, v3, v4
	v_subrev_u32_e32 v4, s40, v3
	v_cmp_le_u32_e32 vcc, s40, v3
	v_cndmask_b32_e32 v3, v3, v4, vcc
	v_cndmask_b32_e32 v1, v1, v5, vcc
	v_add_u32_e32 v4, 1, v1
	v_cmp_le_u32_e32 vcc, s40, v3
	v_cndmask_b32_e32 v5, v1, v4, vcc
	s_or_b64 exec, exec, s[2:3]
	s_and_saveexec_b64 s[20:21], s[0:1]
	s_cbranch_execz .LBB5_2
.LBB5_8:                                ;   in Loop: Header=BB5_3 Depth=1
	v_sub_u32_e32 v1, 0, v9
	v_max_i32_e32 v1, v9, v1
	v_mul_hi_u32 v3, v1, v10
	v_ashrrev_i32_e32 v6, 31, v9
	v_xor_b32_e32 v6, s37, v6
	s_mov_b64 s[22:23], 0
	v_mul_lo_u32 v4, v3, s38
	v_add_u32_e32 v7, 1, v3
	v_sub_u32_e32 v1, v1, v4
	v_cmp_le_u32_e32 vcc, s38, v1
	v_subrev_u32_e32 v4, s38, v1
	v_cndmask_b32_e32 v3, v3, v7, vcc
	v_cndmask_b32_e32 v1, v1, v4, vcc
	v_add_u32_e32 v4, 1, v3
	v_cmp_le_u32_e32 vcc, s38, v1
	v_cndmask_b32_e32 v1, v3, v4, vcc
	v_xor_b32_e32 v1, v1, v6
	v_sub_u32_e32 v4, v1, v6
	v_mul_lo_u32 v1, v4, s10
	v_sub_u32_e32 v1, v9, v1
	v_mul_lo_u32 v1, v1, s8
	v_sub_u32_e32 v3, 0, v1
	v_max_i32_e32 v6, v1, v3
	v_mul_hi_u32 v7, v6, v10
	v_ashrrev_i32_e32 v1, 31, v1
	v_xor_b32_e32 v1, s37, v1
	v_mul_lo_u32 v3, v9, s11
	v_mul_lo_u32 v8, v7, s38
	v_add_u32_e32 v12, 1, v7
	v_sub_u32_e32 v6, v6, v8
	v_cmp_le_u32_e32 vcc, s38, v6
	v_subrev_u32_e32 v8, s38, v6
	v_cndmask_b32_e32 v7, v7, v12, vcc
	v_cndmask_b32_e32 v6, v6, v8, vcc
	v_add_u32_e32 v8, 1, v7
	v_cmp_le_u32_e32 vcc, s38, v6
	v_cndmask_b32_e32 v6, v7, v8, vcc
	v_xor_b32_e32 v6, v6, v1
	v_sub_u32_e32 v1, v6, v1
	v_mad_u64_u32 v[6:7], s[2:3], v4, s8, v[1:2]
	v_ashrrev_i32_e32 v4, 31, v3
	v_lshlrev_b64 v[7:8], 2, v[3:4]
	v_ashrrev_i32_e32 v3, 31, v6
	v_mul_lo_u32 v16, s12, v3
	v_mov_b32_e32 v3, s6
	v_sub_u32_e32 v12, v5, v6
	v_mov_b32_e32 v4, s7
	v_add_u32_e32 v5, 1, v12
	v_mul_lo_u32 v17, s13, v6
	v_mad_u64_u32 v[3:4], s[2:3], s12, v6, v[3:4]
	v_cvt_f32_i32_e32 v15, v5
	v_mov_b32_e32 v1, s34
	v_add_co_u32_e32 v13, vcc, s33, v7
	v_addc_co_u32_e32 v14, vcc, v1, v8, vcc
	v_cmp_gt_u32_e64 s[2:3], s45, v12
	v_add3_u32 v4, v17, v4, v16
	v_mov_b32_e32 v1, v0
	s_branch .LBB5_11
.LBB5_9:                                ;   in Loop: Header=BB5_11 Depth=2
	s_or_b64 exec, exec, s[26:27]
.LBB5_10:                               ;   in Loop: Header=BB5_11 Depth=2
	s_or_b64 exec, exec, s[24:25]
	v_div_scale_f32 v5, s[4:5], v15, v15, v17
	v_div_scale_f32 v6, vcc, v17, v15, v17
	v_rcp_f32_e32 v7, v5
	v_fma_f32 v8, -v5, v7, 1.0
	v_fmac_f32_e32 v7, v8, v7
	v_mul_f32_e32 v8, v6, v7
	v_fma_f32 v18, -v5, v8, v6
	v_fmac_f32_e32 v8, v18, v7
	v_fma_f32 v5, -v5, v8, v6
	v_div_fmas_f32 v5, v5, v7, v8
	v_add_u32_e32 v6, 1, v16
	v_cvt_f32_i32_e32 v7, v6
	v_div_fixup_f32 v8, v5, v15, v17
	v_div_scale_f32 v5, s[4:5], v7, v7, v8
	v_div_scale_f32 v6, vcc, v8, v7, v8
	v_rcp_f32_e32 v16, v5
	v_fma_f32 v17, -v5, v16, 1.0
	v_fmac_f32_e32 v16, v17, v16
	v_mul_f32_e32 v17, v6, v16
	v_fma_f32 v18, -v5, v17, v6
	v_fmac_f32_e32 v17, v18, v16
	v_fma_f32 v5, -v5, v17, v6
	v_div_fmas_f32 v16, v5, v16, v17
	v_lshlrev_b64 v[5:6], 2, v[1:2]
	v_add_u32_e32 v1, s36, v1
	v_cmp_le_i32_e32 vcc, s11, v1
	v_add_co_u32_e64 v5, s[4:5], v13, v5
	v_addc_co_u32_e64 v6, s[4:5], v14, v6, s[4:5]
	s_or_b64 s[22:23], vcc, s[22:23]
	v_div_fixup_f32 v7, v16, v7, v8
	global_store_dword v[5:6], v7, off
	s_andn2_b64 exec, exec, s[22:23]
	s_cbranch_execz .LBB5_2
.LBB5_11:                               ;   Parent Loop BB5_3 Depth=1
                                        ; =>  This Loop Header: Depth=2
                                        ;       Child Loop BB5_18 Depth 3
                                        ;         Child Loop BB5_20 Depth 4
	v_add_u32_e32 v7, 1, v1
	v_mad_u64_u32 v[5:6], s[4:5], v7, s42, -1
	v_mad_u64_u32 v[6:7], s[4:5], v7, s41, v[6:7]
	v_mov_b32_e32 v7, v2
	v_or_b32_e32 v8, s43, v6
	v_cmp_ne_u64_e32 vcc, 0, v[7:8]
                                        ; implicit-def: $vgpr7_vgpr8
	s_and_saveexec_b64 s[4:5], vcc
	s_xor_b64 s[24:25], exec, s[4:5]
	s_cbranch_execz .LBB5_13
; %bb.12:                               ;   in Loop: Header=BB5_11 Depth=2
	s_ashr_i32 s26, s43, 31
	s_add_u32 s4, s44, s26
	s_mov_b32 s27, s26
	s_addc_u32 s5, s43, s26
	s_xor_b64 s[28:29], s[4:5], s[26:27]
	v_cvt_f32_u32_e32 v7, s28
	v_cvt_f32_u32_e32 v8, s29
	s_sub_u32 s19, 0, s28
	s_subb_u32 s27, 0, s29
	v_ashrrev_i32_e32 v16, 31, v6
	v_mac_f32_e32 v7, 0x4f800000, v8
	v_rcp_f32_e32 v7, v7
	v_add_co_u32_e32 v5, vcc, v5, v16
	v_xor_b32_e32 v17, v5, v16
	v_mul_f32_e32 v7, 0x5f7ffffc, v7
	v_mul_f32_e32 v8, 0x2f800000, v7
	v_trunc_f32_e32 v8, v8
	v_mac_f32_e32 v7, 0xcf800000, v8
	v_cvt_u32_f32_e32 v8, v8
	v_cvt_u32_f32_e32 v7, v7
	v_readfirstlane_b32 s30, v8
	v_readfirstlane_b32 s4, v7
	s_mul_i32 s5, s19, s30
	s_mul_hi_u32 s46, s19, s4
	s_mul_i32 s31, s27, s4
	s_add_i32 s5, s46, s5
	s_add_i32 s5, s5, s31
	s_mul_i32 s47, s19, s4
	s_mul_i32 s46, s4, s5
	s_mul_hi_u32 s48, s4, s47
	s_mul_hi_u32 s31, s4, s5
	s_add_u32 s46, s48, s46
	s_addc_u32 s31, 0, s31
	s_mul_hi_u32 s49, s30, s47
	s_mul_i32 s47, s30, s47
	s_add_u32 s46, s46, s47
	s_mul_hi_u32 s48, s30, s5
	s_addc_u32 s31, s31, s49
	s_addc_u32 s46, s48, 0
	s_mul_i32 s5, s30, s5
	s_add_u32 s5, s31, s5
	s_addc_u32 s31, 0, s46
	s_add_u32 s46, s4, s5
	s_cselect_b64 s[4:5], -1, 0
	s_cmp_lg_u64 s[4:5], 0
	s_addc_u32 s30, s30, s31
	s_mul_i32 s4, s19, s30
	s_mul_hi_u32 s5, s19, s46
	s_add_i32 s4, s5, s4
	s_mul_i32 s27, s27, s46
	s_add_i32 s4, s4, s27
	s_mul_i32 s19, s19, s46
	s_mul_hi_u32 s27, s30, s19
	s_mul_i32 s31, s30, s19
	s_mul_i32 s48, s46, s4
	s_mul_hi_u32 s19, s46, s19
	s_mul_hi_u32 s47, s46, s4
	s_add_u32 s19, s19, s48
	s_addc_u32 s47, 0, s47
	s_add_u32 s19, s19, s31
	s_mul_hi_u32 s5, s30, s4
	s_addc_u32 s19, s47, s27
	s_addc_u32 s5, s5, 0
	s_mul_i32 s4, s30, s4
	s_add_u32 s4, s19, s4
	s_addc_u32 s19, 0, s5
	s_add_u32 s27, s46, s4
	s_cselect_b64 s[4:5], -1, 0
	s_cmp_lg_u64 s[4:5], 0
	s_addc_u32 s19, s30, s19
	v_addc_co_u32_e32 v7, vcc, v6, v16, vcc
	v_mad_u64_u32 v[5:6], s[4:5], v17, s19, 0
	v_mul_hi_u32 v8, v17, s27
	v_xor_b32_e32 v18, v7, v16
	v_add_co_u32_e32 v19, vcc, v8, v5
	v_addc_co_u32_e32 v20, vcc, 0, v6, vcc
	v_mad_u64_u32 v[5:6], s[4:5], v18, s27, 0
	v_mad_u64_u32 v[7:8], s[4:5], v18, s19, 0
	v_add_co_u32_e32 v5, vcc, v19, v5
	v_addc_co_u32_e32 v5, vcc, v20, v6, vcc
	v_addc_co_u32_e32 v6, vcc, 0, v8, vcc
	v_add_co_u32_e32 v7, vcc, v5, v7
	v_addc_co_u32_e32 v5, vcc, 0, v6, vcc
	v_mul_lo_u32 v8, s29, v7
	v_mul_lo_u32 v19, s28, v5
	v_mad_u64_u32 v[5:6], s[4:5], s28, v7, 0
	v_add3_u32 v6, v6, v19, v8
	v_sub_u32_e32 v8, v18, v6
	v_mov_b32_e32 v19, s29
	v_sub_co_u32_e32 v5, vcc, v17, v5
	v_subb_co_u32_e64 v8, s[4:5], v8, v19, vcc
	v_subrev_co_u32_e64 v17, s[4:5], s28, v5
	v_subbrev_co_u32_e64 v8, s[4:5], 0, v8, s[4:5]
	v_cmp_le_u32_e64 s[4:5], s29, v8
	v_subb_co_u32_e32 v6, vcc, v18, v6, vcc
	v_cndmask_b32_e64 v19, 0, -1, s[4:5]
	v_cmp_le_u32_e64 s[4:5], s28, v17
	v_cmp_le_u32_e32 vcc, s29, v6
	v_cndmask_b32_e64 v17, 0, -1, s[4:5]
	v_cmp_eq_u32_e64 s[4:5], s29, v8
	v_cndmask_b32_e64 v18, 0, -1, vcc
	v_cmp_le_u32_e32 vcc, s28, v5
	v_cndmask_b32_e64 v8, v19, v17, s[4:5]
	v_cndmask_b32_e64 v5, 0, -1, vcc
	v_cmp_eq_u32_e32 vcc, s29, v6
	v_add_co_u32_e64 v17, s[4:5], 2, v7
	v_add_co_u32_e64 v19, s[4:5], 1, v7
	v_cndmask_b32_e32 v5, v18, v5, vcc
	v_cmp_ne_u32_e32 vcc, 0, v8
	v_cndmask_b32_e32 v6, v19, v17, vcc
	v_cmp_ne_u32_e32 vcc, 0, v5
	v_cndmask_b32_e32 v5, v7, v6, vcc
	v_xor_b32_e32 v6, s26, v16
	v_xor_b32_e32 v5, v5, v6
	v_sub_co_u32_e32 v7, vcc, v5, v6
                                        ; implicit-def: $vgpr5_vgpr6
.LBB5_13:                               ;   in Loop: Header=BB5_11 Depth=2
	s_andn2_saveexec_b64 s[4:5], s[24:25]
	s_cbranch_execz .LBB5_15
; %bb.14:                               ;   in Loop: Header=BB5_11 Depth=2
	v_cvt_f32_u32_e32 v6, s44
	s_sub_i32 s19, 0, s44
	v_rcp_iflag_f32_e32 v6, v6
	v_mul_f32_e32 v6, 0x4f7ffffe, v6
	v_cvt_u32_f32_e32 v6, v6
	v_mul_lo_u32 v7, s19, v6
	v_mul_hi_u32 v7, v6, v7
	v_add_u32_e32 v6, v6, v7
	v_mul_hi_u32 v6, v5, v6
	v_mul_lo_u32 v7, v6, s44
	v_add_u32_e32 v8, 1, v6
	v_sub_u32_e32 v5, v5, v7
	v_subrev_u32_e32 v7, s44, v5
	v_cmp_le_u32_e32 vcc, s44, v5
	v_cndmask_b32_e32 v5, v5, v7, vcc
	v_cndmask_b32_e32 v6, v6, v8, vcc
	v_add_u32_e32 v7, 1, v6
	v_cmp_le_u32_e32 vcc, s44, v5
	v_cndmask_b32_e32 v7, v6, v7, vcc
.LBB5_15:                               ;   in Loop: Header=BB5_11 Depth=2
	s_or_b64 exec, exec, s[4:5]
	v_mul_hi_u32 v5, v1, v11
	v_mul_lo_u32 v6, v1, s9
	v_mul_lo_u32 v8, v5, s39
	v_sub_u32_e32 v17, 0, v6
	v_max_i32_e32 v17, v6, v17
	v_add_u32_e32 v16, 1, v5
	v_sub_u32_e32 v8, v1, v8
	v_cmp_le_u32_e32 vcc, s39, v8
	v_mul_hi_u32 v18, v17, v11
	v_cndmask_b32_e32 v5, v5, v16, vcc
	v_subrev_u32_e32 v16, s39, v8
	v_cndmask_b32_e32 v8, v8, v16, vcc
	v_add_u32_e32 v16, 1, v5
	v_cmp_le_u32_e32 vcc, s39, v8
	v_cndmask_b32_e32 v5, v5, v16, vcc
	v_mul_lo_u32 v16, v18, s39
	v_xor_b32_e32 v5, s43, v5
	v_subrev_u32_e32 v5, s43, v5
	v_mul_lo_u32 v8, v5, s9
	v_ashrrev_i32_e32 v5, 31, v6
	v_sub_u32_e32 v6, v17, v16
	v_add_u32_e32 v16, 1, v18
	v_cmp_le_u32_e32 vcc, s39, v6
	v_subrev_u32_e32 v17, s39, v6
	v_cndmask_b32_e32 v16, v18, v16, vcc
	v_cndmask_b32_e32 v6, v6, v17, vcc
	v_add_u32_e32 v17, 1, v16
	v_cmp_le_u32_e32 vcc, s39, v6
	v_xor_b32_e32 v5, s43, v5
	v_cndmask_b32_e32 v6, v16, v17, vcc
	v_xor_b32_e32 v18, v6, v5
	v_sub_u32_e32 v6, v18, v5
	v_add_u32_e32 v19, v6, v8
	v_sub_u32_e32 v16, v7, v19
	v_mov_b32_e32 v17, 0
	s_and_saveexec_b64 s[24:25], s[2:3]
	s_cbranch_execz .LBB5_10
; %bb.16:                               ;   in Loop: Header=BB5_11 Depth=2
	v_ashrrev_i32_e32 v17, 31, v19
	v_add_u32_e32 v7, v5, v7
	v_mad_u64_u32 v[5:6], s[4:5], s14, v19, v[3:4]
	v_mul_lo_u32 v19, s15, v19
	v_mul_lo_u32 v17, s14, v17
	v_sub_u32_e32 v7, v7, v8
	v_sub_u32_e32 v7, v7, v18
	v_cmp_gt_u32_e32 vcc, s45, v16
	v_add_u32_e32 v18, 1, v7
	v_add3_u32 v6, v19, v6, v17
	v_mov_b32_e32 v17, 0
	s_mov_b32 s19, 0
	s_mov_b64 s[26:27], 0
	s_branch .LBB5_18
.LBB5_17:                               ;   in Loop: Header=BB5_18 Depth=3
	s_or_b64 exec, exec, s[28:29]
	v_mov_b32_e32 v7, s13
	v_add_co_u32_e64 v5, s[4:5], s12, v5
	v_addc_co_u32_e64 v6, s[4:5], v6, v7, s[4:5]
	s_add_i32 s28, s19, 1
	v_cmp_eq_u32_e64 s[4:5], s19, v12
	s_or_b64 s[26:27], s[4:5], s[26:27]
	s_mov_b32 s19, s28
	s_andn2_b64 exec, exec, s[26:27]
	s_cbranch_execz .LBB5_9
.LBB5_18:                               ;   Parent Loop BB5_3 Depth=1
                                        ;     Parent Loop BB5_11 Depth=2
                                        ; =>    This Loop Header: Depth=3
                                        ;         Child Loop BB5_20 Depth 4
	s_and_saveexec_b64 s[28:29], vcc
	s_cbranch_execz .LBB5_17
; %bb.19:                               ;   in Loop: Header=BB5_18 Depth=3
	v_mov_b32_e32 v8, v6
	s_mov_b64 s[30:31], 0
	v_mov_b32_e32 v7, v5
	v_mov_b32_e32 v19, v18
.LBB5_20:                               ;   Parent Loop BB5_3 Depth=1
                                        ;     Parent Loop BB5_11 Depth=2
                                        ;       Parent Loop BB5_18 Depth=3
                                        ; =>      This Inner Loop Header: Depth=4
	global_load_dword v20, v[7:8], off
	v_mov_b32_e32 v21, s15
	v_add_co_u32_e64 v7, s[4:5], s14, v7
	v_add_u32_e32 v19, -1, v19
	v_addc_co_u32_e64 v8, s[4:5], v8, v21, s[4:5]
	v_cmp_eq_u32_e64 s[4:5], 0, v19
	s_or_b64 s[30:31], s[4:5], s[30:31]
	s_waitcnt vmcnt(0)
	v_add_f32_e32 v17, v17, v20
	s_andn2_b64 exec, exec, s[30:31]
	s_cbranch_execnz .LBB5_20
; %bb.21:                               ;   in Loop: Header=BB5_18 Depth=3
	s_or_b64 exec, exec, s[30:31]
	s_branch .LBB5_17
.LBB5_22:
	s_endpgm
	.section	.rodata,"a",@progbits
	.p2align	6, 0x0
	.amdhsa_kernel _ZN2at6native12_GLOBAL__N_121adaptive_average_poolIfEEvPKT_PS3_iiiilll
		.amdhsa_group_segment_fixed_size 0
		.amdhsa_private_segment_fixed_size 0
		.amdhsa_kernarg_size 312
		.amdhsa_user_sgpr_count 6
		.amdhsa_user_sgpr_private_segment_buffer 1
		.amdhsa_user_sgpr_dispatch_ptr 0
		.amdhsa_user_sgpr_queue_ptr 0
		.amdhsa_user_sgpr_kernarg_segment_ptr 1
		.amdhsa_user_sgpr_dispatch_id 0
		.amdhsa_user_sgpr_flat_scratch_init 0
		.amdhsa_user_sgpr_private_segment_size 0
		.amdhsa_uses_dynamic_stack 0
		.amdhsa_system_sgpr_private_segment_wavefront_offset 0
		.amdhsa_system_sgpr_workgroup_id_x 1
		.amdhsa_system_sgpr_workgroup_id_y 1
		.amdhsa_system_sgpr_workgroup_id_z 0
		.amdhsa_system_sgpr_workgroup_info 0
		.amdhsa_system_vgpr_workitem_id 1
		.amdhsa_next_free_vgpr 22
		.amdhsa_next_free_sgpr 50
		.amdhsa_reserve_vcc 1
		.amdhsa_reserve_flat_scratch 0
		.amdhsa_float_round_mode_32 0
		.amdhsa_float_round_mode_16_64 0
		.amdhsa_float_denorm_mode_32 3
		.amdhsa_float_denorm_mode_16_64 3
		.amdhsa_dx10_clamp 1
		.amdhsa_ieee_mode 1
		.amdhsa_fp16_overflow 0
		.amdhsa_exception_fp_ieee_invalid_op 0
		.amdhsa_exception_fp_denorm_src 0
		.amdhsa_exception_fp_ieee_div_zero 0
		.amdhsa_exception_fp_ieee_overflow 0
		.amdhsa_exception_fp_ieee_underflow 0
		.amdhsa_exception_fp_ieee_inexact 0
		.amdhsa_exception_int_div_zero 0
	.end_amdhsa_kernel
	.section	.text._ZN2at6native12_GLOBAL__N_121adaptive_average_poolIfEEvPKT_PS3_iiiilll,"axG",@progbits,_ZN2at6native12_GLOBAL__N_121adaptive_average_poolIfEEvPKT_PS3_iiiilll,comdat
.Lfunc_end5:
	.size	_ZN2at6native12_GLOBAL__N_121adaptive_average_poolIfEEvPKT_PS3_iiiilll, .Lfunc_end5-_ZN2at6native12_GLOBAL__N_121adaptive_average_poolIfEEvPKT_PS3_iiiilll
                                        ; -- End function
	.set _ZN2at6native12_GLOBAL__N_121adaptive_average_poolIfEEvPKT_PS3_iiiilll.num_vgpr, 22
	.set _ZN2at6native12_GLOBAL__N_121adaptive_average_poolIfEEvPKT_PS3_iiiilll.num_agpr, 0
	.set _ZN2at6native12_GLOBAL__N_121adaptive_average_poolIfEEvPKT_PS3_iiiilll.numbered_sgpr, 50
	.set _ZN2at6native12_GLOBAL__N_121adaptive_average_poolIfEEvPKT_PS3_iiiilll.num_named_barrier, 0
	.set _ZN2at6native12_GLOBAL__N_121adaptive_average_poolIfEEvPKT_PS3_iiiilll.private_seg_size, 0
	.set _ZN2at6native12_GLOBAL__N_121adaptive_average_poolIfEEvPKT_PS3_iiiilll.uses_vcc, 1
	.set _ZN2at6native12_GLOBAL__N_121adaptive_average_poolIfEEvPKT_PS3_iiiilll.uses_flat_scratch, 0
	.set _ZN2at6native12_GLOBAL__N_121adaptive_average_poolIfEEvPKT_PS3_iiiilll.has_dyn_sized_stack, 0
	.set _ZN2at6native12_GLOBAL__N_121adaptive_average_poolIfEEvPKT_PS3_iiiilll.has_recursion, 0
	.set _ZN2at6native12_GLOBAL__N_121adaptive_average_poolIfEEvPKT_PS3_iiiilll.has_indirect_call, 0
	.section	.AMDGPU.csdata,"",@progbits
; Kernel info:
; codeLenInByte = 2680
; TotalNumSgprs: 54
; NumVgprs: 22
; ScratchSize: 0
; MemoryBound: 0
; FloatMode: 240
; IeeeMode: 1
; LDSByteSize: 0 bytes/workgroup (compile time only)
; SGPRBlocks: 6
; VGPRBlocks: 5
; NumSGPRsForWavesPerEU: 54
; NumVGPRsForWavesPerEU: 22
; Occupancy: 10
; WaveLimiterHint : 0
; COMPUTE_PGM_RSRC2:SCRATCH_EN: 0
; COMPUTE_PGM_RSRC2:USER_SGPR: 6
; COMPUTE_PGM_RSRC2:TRAP_HANDLER: 0
; COMPUTE_PGM_RSRC2:TGID_X_EN: 1
; COMPUTE_PGM_RSRC2:TGID_Y_EN: 1
; COMPUTE_PGM_RSRC2:TGID_Z_EN: 0
; COMPUTE_PGM_RSRC2:TIDIG_COMP_CNT: 1
	.section	.text._ZN2at6native12_GLOBAL__N_121adaptive_average_poolIN3c104HalfEEEvPKT_PS5_iiiilll,"axG",@progbits,_ZN2at6native12_GLOBAL__N_121adaptive_average_poolIN3c104HalfEEEvPKT_PS5_iiiilll,comdat
	.globl	_ZN2at6native12_GLOBAL__N_121adaptive_average_poolIN3c104HalfEEEvPKT_PS5_iiiilll ; -- Begin function _ZN2at6native12_GLOBAL__N_121adaptive_average_poolIN3c104HalfEEEvPKT_PS5_iiiilll
	.p2align	8
	.type	_ZN2at6native12_GLOBAL__N_121adaptive_average_poolIN3c104HalfEEEvPKT_PS5_iiiilll,@function
_ZN2at6native12_GLOBAL__N_121adaptive_average_poolIN3c104HalfEEEvPKT_PS5_iiiilll: ; @_ZN2at6native12_GLOBAL__N_121adaptive_average_poolIN3c104HalfEEEvPKT_PS5_iiiilll
; %bb.0:
	s_load_dword s2, s[4:5], 0x44
	s_load_dwordx4 s[8:11], s[4:5], 0x10
	s_add_u32 s0, s4, 56
	s_addc_u32 s1, s5, 0
	s_waitcnt lgkmcnt(0)
	s_lshr_b32 s3, s2, 16
	s_mul_i32 s7, s7, s3
	v_add_u32_e32 v9, s7, v1
	v_cmp_gt_i32_e32 vcc, s10, v9
	s_and_saveexec_b64 s[12:13], vcc
	s_cbranch_execz .LBB6_22
; %bb.1:
	s_load_dwordx4 s[16:19], s[4:5], 0x0
	s_load_dwordx4 s[12:15], s[4:5], 0x20
	s_load_dwordx2 s[20:21], s[4:5], 0x30
	s_mul_i32 s4, s10, s6
	s_mul_i32 s4, s4, s11
	s_ashr_i32 s5, s4, 31
	s_load_dword s35, s[0:1], 0x4
	s_lshl_b64 s[0:1], s[4:5], 1
	s_waitcnt lgkmcnt(0)
	s_add_u32 s33, s18, s0
	s_addc_u32 s34, s19, s1
	s_abs_i32 s38, s10
	v_cvt_f32_u32_e32 v1, s38
	s_abs_i32 s39, s11
	v_cvt_f32_u32_e32 v2, s39
	s_and_b32 s36, s2, 0xffff
	v_rcp_iflag_f32_e32 v1, v1
	s_sub_i32 s2, 0, s38
	v_rcp_iflag_f32_e32 v2, v2
	s_ashr_i32 s4, s6, 31
	v_mul_f32_e32 v1, 0x4f7ffffe, v1
	v_cvt_u32_f32_e32 v1, v1
	v_mul_f32_e32 v2, 0x4f7ffffe, v2
	v_cvt_u32_f32_e32 v3, v2
	s_mul_i32 s35, s35, s3
	v_mul_lo_u32 v2, s2, v1
	s_sub_i32 s2, 0, s39
	v_mul_lo_u32 v4, s2, v3
	s_mul_hi_u32 s2, s12, s6
	s_mul_i32 s3, s12, s4
	v_mul_hi_u32 v2, v1, v2
	v_mul_hi_u32 v4, v3, v4
	s_add_i32 s2, s2, s3
	s_mul_i32 s3, s13, s6
	s_add_i32 s3, s2, s3
	s_mul_i32 s2, s12, s6
	s_ashr_i32 s37, s10, 31
	s_ashr_i32 s41, s9, 31
	;; [unrolled: 1-line block ×3, first 2 shown]
	s_lshl_b64 s[2:3], s[2:3], 1
	s_add_u32 s6, s16, s2
	s_mov_b32 s40, s10
	v_cmp_gt_i32_e64 s[0:1], s11, v0
	s_mov_b32 s42, s9
	s_mov_b32 s44, s11
	v_add_u32_e32 v10, v1, v2
	v_mov_b32_e32 v2, 0
	v_add_u32_e32 v11, v3, v4
	s_addc_u32 s7, s17, s3
	s_lshl_b64 s[12:13], s[14:15], 1
	s_lshl_b64 s[14:15], s[20:21], 1
	s_mov_b64 s[16:17], 0
	s_brev_b32 s45, -2
	s_ashr_i32 s18, s37, 31
	s_branch .LBB6_3
.LBB6_2:                                ;   in Loop: Header=BB6_3 Depth=1
	s_or_b64 exec, exec, s[20:21]
	v_add_u32_e32 v9, s35, v9
	v_cmp_le_i32_e32 vcc, s10, v9
	s_or_b64 s[16:17], vcc, s[16:17]
	s_andn2_b64 exec, exec, s[16:17]
	s_cbranch_execz .LBB6_22
.LBB6_3:                                ; =>This Loop Header: Depth=1
                                        ;     Child Loop BB6_11 Depth 2
                                        ;       Child Loop BB6_18 Depth 3
                                        ;         Child Loop BB6_20 Depth 4
	v_add_u32_e32 v1, 1, v9
	v_mad_i64_i32 v[3:4], s[2:3], v1, s8, -1
	v_mov_b32_e32 v5, v2
	v_or_b32_e32 v6, s37, v4
	v_cmp_ne_u64_e32 vcc, 0, v[5:6]
                                        ; implicit-def: $vgpr5_vgpr6
	s_and_saveexec_b64 s[2:3], vcc
	s_xor_b64 s[4:5], exec, s[2:3]
	s_cbranch_execnz .LBB6_6
; %bb.4:                                ;   in Loop: Header=BB6_3 Depth=1
	s_andn2_saveexec_b64 s[2:3], s[4:5]
	s_cbranch_execnz .LBB6_7
.LBB6_5:                                ;   in Loop: Header=BB6_3 Depth=1
	s_or_b64 exec, exec, s[2:3]
	s_and_saveexec_b64 s[20:21], s[0:1]
	s_cbranch_execz .LBB6_2
	s_branch .LBB6_8
.LBB6_6:                                ;   in Loop: Header=BB6_3 Depth=1
	s_add_u32 s2, s40, s18
	s_mov_b32 s19, s18
	s_addc_u32 s3, s37, s18
	s_xor_b64 s[20:21], s[2:3], s[18:19]
	v_cvt_f32_u32_e32 v1, s20
	v_cvt_f32_u32_e32 v5, s21
	s_sub_u32 s19, 0, s20
	s_subb_u32 s22, 0, s21
	v_mac_f32_e32 v1, 0x4f800000, v5
	v_rcp_f32_e32 v1, v1
	v_mul_f32_e32 v1, 0x5f7ffffc, v1
	v_mul_f32_e32 v5, 0x2f800000, v1
	v_trunc_f32_e32 v5, v5
	v_mac_f32_e32 v1, 0xcf800000, v5
	v_cvt_u32_f32_e32 v5, v5
	v_cvt_u32_f32_e32 v1, v1
	v_readfirstlane_b32 s23, v5
	v_readfirstlane_b32 s2, v1
	s_mul_i32 s3, s19, s23
	s_mul_hi_u32 s25, s19, s2
	s_mul_i32 s24, s22, s2
	s_add_i32 s3, s25, s3
	s_add_i32 s3, s3, s24
	s_mul_i32 s26, s19, s2
	s_mul_i32 s25, s2, s3
	s_mul_hi_u32 s27, s2, s26
	s_mul_hi_u32 s24, s2, s3
	s_add_u32 s25, s27, s25
	s_addc_u32 s24, 0, s24
	s_mul_hi_u32 s28, s23, s26
	s_mul_i32 s26, s23, s26
	s_add_u32 s25, s25, s26
	s_mul_hi_u32 s27, s23, s3
	s_addc_u32 s24, s24, s28
	s_addc_u32 s25, s27, 0
	s_mul_i32 s3, s23, s3
	s_add_u32 s3, s24, s3
	s_addc_u32 s24, 0, s25
	s_add_u32 s25, s2, s3
	s_cselect_b64 s[2:3], -1, 0
	s_cmp_lg_u64 s[2:3], 0
	s_addc_u32 s23, s23, s24
	s_mul_i32 s2, s19, s23
	s_mul_hi_u32 s3, s19, s25
	s_add_i32 s2, s3, s2
	s_mul_i32 s22, s22, s25
	s_add_i32 s2, s2, s22
	s_mul_i32 s19, s19, s25
	s_mul_hi_u32 s22, s23, s19
	s_mul_i32 s24, s23, s19
	s_mul_i32 s27, s25, s2
	s_mul_hi_u32 s19, s25, s19
	s_mul_hi_u32 s26, s25, s2
	s_add_u32 s19, s19, s27
	s_addc_u32 s26, 0, s26
	s_add_u32 s19, s19, s24
	s_mul_hi_u32 s3, s23, s2
	s_addc_u32 s19, s26, s22
	s_addc_u32 s3, s3, 0
	s_mul_i32 s2, s23, s2
	s_add_u32 s2, s19, s2
	s_addc_u32 s19, 0, s3
	s_add_u32 s22, s25, s2
	s_cselect_b64 s[2:3], -1, 0
	v_ashrrev_i32_e32 v1, 31, v4
	s_cmp_lg_u64 s[2:3], 0
	v_add_co_u32_e32 v3, vcc, v3, v1
	s_addc_u32 s19, s23, s19
	v_xor_b32_e32 v7, v3, v1
	v_addc_co_u32_e32 v5, vcc, v4, v1, vcc
	v_mad_u64_u32 v[3:4], s[2:3], v7, s19, 0
	v_mul_hi_u32 v6, v7, s22
	v_xor_b32_e32 v8, v5, v1
	v_xor_b32_e32 v1, s18, v1
	v_add_co_u32_e32 v12, vcc, v6, v3
	v_addc_co_u32_e32 v13, vcc, 0, v4, vcc
	v_mad_u64_u32 v[3:4], s[2:3], v8, s22, 0
	v_mad_u64_u32 v[5:6], s[2:3], v8, s19, 0
	v_add_co_u32_e32 v3, vcc, v12, v3
	v_addc_co_u32_e32 v3, vcc, v13, v4, vcc
	v_addc_co_u32_e32 v4, vcc, 0, v6, vcc
	v_add_co_u32_e32 v5, vcc, v3, v5
	v_addc_co_u32_e32 v3, vcc, 0, v4, vcc
	v_mul_lo_u32 v6, s21, v5
	v_mul_lo_u32 v12, s20, v3
	v_mad_u64_u32 v[3:4], s[2:3], s20, v5, 0
	v_add3_u32 v4, v4, v12, v6
	v_sub_u32_e32 v6, v8, v4
	v_mov_b32_e32 v12, s21
	v_sub_co_u32_e32 v3, vcc, v7, v3
	v_subb_co_u32_e64 v6, s[2:3], v6, v12, vcc
	v_subrev_co_u32_e64 v7, s[2:3], s20, v3
	v_subbrev_co_u32_e64 v6, s[2:3], 0, v6, s[2:3]
	v_cmp_le_u32_e64 s[2:3], s21, v6
	v_subb_co_u32_e32 v4, vcc, v8, v4, vcc
	v_cndmask_b32_e64 v12, 0, -1, s[2:3]
	v_cmp_le_u32_e64 s[2:3], s20, v7
	v_cmp_le_u32_e32 vcc, s21, v4
	v_cndmask_b32_e64 v7, 0, -1, s[2:3]
	v_cmp_eq_u32_e64 s[2:3], s21, v6
	v_cndmask_b32_e64 v8, 0, -1, vcc
	v_cmp_le_u32_e32 vcc, s20, v3
	v_cndmask_b32_e64 v6, v12, v7, s[2:3]
	v_cndmask_b32_e64 v3, 0, -1, vcc
	v_cmp_eq_u32_e32 vcc, s21, v4
	v_add_co_u32_e64 v7, s[2:3], 2, v5
	v_add_co_u32_e64 v12, s[2:3], 1, v5
	v_cndmask_b32_e32 v3, v8, v3, vcc
	v_cmp_ne_u32_e32 vcc, 0, v6
	v_cndmask_b32_e32 v4, v12, v7, vcc
	v_cmp_ne_u32_e32 vcc, 0, v3
	v_cndmask_b32_e32 v3, v5, v4, vcc
	v_xor_b32_e32 v3, v3, v1
	v_sub_co_u32_e32 v5, vcc, v3, v1
                                        ; implicit-def: $vgpr3_vgpr4
	s_andn2_saveexec_b64 s[2:3], s[4:5]
	s_cbranch_execz .LBB6_5
.LBB6_7:                                ;   in Loop: Header=BB6_3 Depth=1
	v_cvt_f32_u32_e32 v1, s40
	s_sub_i32 s4, 0, s40
	v_rcp_iflag_f32_e32 v1, v1
	v_mul_f32_e32 v1, 0x4f7ffffe, v1
	v_cvt_u32_f32_e32 v1, v1
	v_mul_lo_u32 v4, s4, v1
	v_mul_hi_u32 v4, v1, v4
	v_add_u32_e32 v1, v1, v4
	v_mul_hi_u32 v1, v3, v1
	v_mul_lo_u32 v4, v1, s40
	v_add_u32_e32 v5, 1, v1
	v_sub_u32_e32 v3, v3, v4
	v_subrev_u32_e32 v4, s40, v3
	v_cmp_le_u32_e32 vcc, s40, v3
	v_cndmask_b32_e32 v3, v3, v4, vcc
	v_cndmask_b32_e32 v1, v1, v5, vcc
	v_add_u32_e32 v4, 1, v1
	v_cmp_le_u32_e32 vcc, s40, v3
	v_cndmask_b32_e32 v5, v1, v4, vcc
	s_or_b64 exec, exec, s[2:3]
	s_and_saveexec_b64 s[20:21], s[0:1]
	s_cbranch_execz .LBB6_2
.LBB6_8:                                ;   in Loop: Header=BB6_3 Depth=1
	v_sub_u32_e32 v1, 0, v9
	v_max_i32_e32 v1, v9, v1
	v_mul_hi_u32 v3, v1, v10
	v_ashrrev_i32_e32 v6, 31, v9
	v_xor_b32_e32 v6, s37, v6
	s_mov_b64 s[22:23], 0
	v_mul_lo_u32 v4, v3, s38
	v_add_u32_e32 v7, 1, v3
	v_sub_u32_e32 v1, v1, v4
	v_cmp_le_u32_e32 vcc, s38, v1
	v_subrev_u32_e32 v4, s38, v1
	v_cndmask_b32_e32 v3, v3, v7, vcc
	v_cndmask_b32_e32 v1, v1, v4, vcc
	v_add_u32_e32 v4, 1, v3
	v_cmp_le_u32_e32 vcc, s38, v1
	v_cndmask_b32_e32 v1, v3, v4, vcc
	v_xor_b32_e32 v1, v1, v6
	v_sub_u32_e32 v4, v1, v6
	v_mul_lo_u32 v1, v4, s10
	v_sub_u32_e32 v1, v9, v1
	v_mul_lo_u32 v1, v1, s8
	v_sub_u32_e32 v3, 0, v1
	v_max_i32_e32 v6, v1, v3
	v_mul_hi_u32 v7, v6, v10
	v_ashrrev_i32_e32 v1, 31, v1
	v_xor_b32_e32 v1, s37, v1
	v_mul_lo_u32 v3, v9, s11
	v_mul_lo_u32 v8, v7, s38
	v_add_u32_e32 v12, 1, v7
	v_sub_u32_e32 v6, v6, v8
	v_cmp_le_u32_e32 vcc, s38, v6
	v_subrev_u32_e32 v8, s38, v6
	v_cndmask_b32_e32 v7, v7, v12, vcc
	v_cndmask_b32_e32 v6, v6, v8, vcc
	v_add_u32_e32 v8, 1, v7
	v_cmp_le_u32_e32 vcc, s38, v6
	v_cndmask_b32_e32 v6, v7, v8, vcc
	v_xor_b32_e32 v6, v6, v1
	v_sub_u32_e32 v1, v6, v1
	v_mad_u64_u32 v[6:7], s[2:3], v4, s8, v[1:2]
	v_ashrrev_i32_e32 v4, 31, v3
	v_lshlrev_b64 v[7:8], 1, v[3:4]
	v_ashrrev_i32_e32 v3, 31, v6
	v_mul_lo_u32 v16, s12, v3
	v_mov_b32_e32 v3, s6
	v_sub_u32_e32 v12, v5, v6
	v_mov_b32_e32 v4, s7
	v_add_u32_e32 v5, 1, v12
	v_mul_lo_u32 v17, s13, v6
	v_mad_u64_u32 v[3:4], s[2:3], s12, v6, v[3:4]
	v_cvt_f32_i32_e32 v15, v5
	v_mov_b32_e32 v1, s34
	v_add_co_u32_e32 v13, vcc, s33, v7
	v_addc_co_u32_e32 v14, vcc, v1, v8, vcc
	v_cmp_gt_u32_e64 s[2:3], s45, v12
	v_add3_u32 v4, v17, v4, v16
	v_mov_b32_e32 v1, v0
	s_branch .LBB6_11
.LBB6_9:                                ;   in Loop: Header=BB6_11 Depth=2
	s_or_b64 exec, exec, s[26:27]
.LBB6_10:                               ;   in Loop: Header=BB6_11 Depth=2
	s_or_b64 exec, exec, s[24:25]
	v_div_scale_f32 v5, s[4:5], v15, v15, v17
	v_div_scale_f32 v6, vcc, v17, v15, v17
	v_rcp_f32_e32 v7, v5
	v_fma_f32 v8, -v5, v7, 1.0
	v_fmac_f32_e32 v7, v8, v7
	v_mul_f32_e32 v8, v6, v7
	v_fma_f32 v18, -v5, v8, v6
	v_fmac_f32_e32 v8, v18, v7
	v_fma_f32 v5, -v5, v8, v6
	v_div_fmas_f32 v5, v5, v7, v8
	v_add_u32_e32 v6, 1, v16
	v_cvt_f32_i32_e32 v7, v6
	v_div_fixup_f32 v8, v5, v15, v17
	v_div_scale_f32 v5, s[4:5], v7, v7, v8
	v_div_scale_f32 v6, vcc, v8, v7, v8
	v_rcp_f32_e32 v16, v5
	v_fma_f32 v17, -v5, v16, 1.0
	v_fmac_f32_e32 v16, v17, v16
	v_mul_f32_e32 v17, v6, v16
	v_fma_f32 v18, -v5, v17, v6
	v_fmac_f32_e32 v17, v18, v16
	v_fma_f32 v5, -v5, v17, v6
	v_div_fmas_f32 v16, v5, v16, v17
	v_lshlrev_b64 v[5:6], 1, v[1:2]
	v_add_u32_e32 v1, s36, v1
	v_add_co_u32_e32 v5, vcc, v13, v5
	v_addc_co_u32_e32 v6, vcc, v14, v6, vcc
	v_cmp_le_i32_e32 vcc, s11, v1
	s_or_b64 s[22:23], vcc, s[22:23]
	v_div_fixup_f32 v7, v16, v7, v8
	v_cvt_f16_f32_e32 v7, v7
	global_store_short v[5:6], v7, off
	s_andn2_b64 exec, exec, s[22:23]
	s_cbranch_execz .LBB6_2
.LBB6_11:                               ;   Parent Loop BB6_3 Depth=1
                                        ; =>  This Loop Header: Depth=2
                                        ;       Child Loop BB6_18 Depth 3
                                        ;         Child Loop BB6_20 Depth 4
	v_add_u32_e32 v7, 1, v1
	v_mad_u64_u32 v[5:6], s[4:5], v7, s42, -1
	v_mad_u64_u32 v[6:7], s[4:5], v7, s41, v[6:7]
	v_mov_b32_e32 v7, v2
	v_or_b32_e32 v8, s43, v6
	v_cmp_ne_u64_e32 vcc, 0, v[7:8]
                                        ; implicit-def: $vgpr7_vgpr8
	s_and_saveexec_b64 s[4:5], vcc
	s_xor_b64 s[24:25], exec, s[4:5]
	s_cbranch_execz .LBB6_13
; %bb.12:                               ;   in Loop: Header=BB6_11 Depth=2
	s_ashr_i32 s26, s43, 31
	s_add_u32 s4, s44, s26
	s_mov_b32 s27, s26
	s_addc_u32 s5, s43, s26
	s_xor_b64 s[28:29], s[4:5], s[26:27]
	v_cvt_f32_u32_e32 v7, s28
	v_cvt_f32_u32_e32 v8, s29
	s_sub_u32 s19, 0, s28
	s_subb_u32 s27, 0, s29
	v_ashrrev_i32_e32 v16, 31, v6
	v_mac_f32_e32 v7, 0x4f800000, v8
	v_rcp_f32_e32 v7, v7
	v_add_co_u32_e32 v5, vcc, v5, v16
	v_xor_b32_e32 v17, v5, v16
	v_mul_f32_e32 v7, 0x5f7ffffc, v7
	v_mul_f32_e32 v8, 0x2f800000, v7
	v_trunc_f32_e32 v8, v8
	v_mac_f32_e32 v7, 0xcf800000, v8
	v_cvt_u32_f32_e32 v8, v8
	v_cvt_u32_f32_e32 v7, v7
	v_readfirstlane_b32 s30, v8
	v_readfirstlane_b32 s4, v7
	s_mul_i32 s5, s19, s30
	s_mul_hi_u32 s46, s19, s4
	s_mul_i32 s31, s27, s4
	s_add_i32 s5, s46, s5
	s_add_i32 s5, s5, s31
	s_mul_i32 s47, s19, s4
	s_mul_i32 s46, s4, s5
	s_mul_hi_u32 s48, s4, s47
	s_mul_hi_u32 s31, s4, s5
	s_add_u32 s46, s48, s46
	s_addc_u32 s31, 0, s31
	s_mul_hi_u32 s49, s30, s47
	s_mul_i32 s47, s30, s47
	s_add_u32 s46, s46, s47
	s_mul_hi_u32 s48, s30, s5
	s_addc_u32 s31, s31, s49
	s_addc_u32 s46, s48, 0
	s_mul_i32 s5, s30, s5
	s_add_u32 s5, s31, s5
	s_addc_u32 s31, 0, s46
	s_add_u32 s46, s4, s5
	s_cselect_b64 s[4:5], -1, 0
	s_cmp_lg_u64 s[4:5], 0
	s_addc_u32 s30, s30, s31
	s_mul_i32 s4, s19, s30
	s_mul_hi_u32 s5, s19, s46
	s_add_i32 s4, s5, s4
	s_mul_i32 s27, s27, s46
	s_add_i32 s4, s4, s27
	s_mul_i32 s19, s19, s46
	s_mul_hi_u32 s27, s30, s19
	s_mul_i32 s31, s30, s19
	s_mul_i32 s48, s46, s4
	s_mul_hi_u32 s19, s46, s19
	s_mul_hi_u32 s47, s46, s4
	s_add_u32 s19, s19, s48
	s_addc_u32 s47, 0, s47
	s_add_u32 s19, s19, s31
	s_mul_hi_u32 s5, s30, s4
	s_addc_u32 s19, s47, s27
	s_addc_u32 s5, s5, 0
	s_mul_i32 s4, s30, s4
	s_add_u32 s4, s19, s4
	s_addc_u32 s19, 0, s5
	s_add_u32 s27, s46, s4
	s_cselect_b64 s[4:5], -1, 0
	s_cmp_lg_u64 s[4:5], 0
	s_addc_u32 s19, s30, s19
	v_addc_co_u32_e32 v7, vcc, v6, v16, vcc
	v_mad_u64_u32 v[5:6], s[4:5], v17, s19, 0
	v_mul_hi_u32 v8, v17, s27
	v_xor_b32_e32 v18, v7, v16
	v_add_co_u32_e32 v19, vcc, v8, v5
	v_addc_co_u32_e32 v20, vcc, 0, v6, vcc
	v_mad_u64_u32 v[5:6], s[4:5], v18, s27, 0
	v_mad_u64_u32 v[7:8], s[4:5], v18, s19, 0
	v_add_co_u32_e32 v5, vcc, v19, v5
	v_addc_co_u32_e32 v5, vcc, v20, v6, vcc
	v_addc_co_u32_e32 v6, vcc, 0, v8, vcc
	v_add_co_u32_e32 v7, vcc, v5, v7
	v_addc_co_u32_e32 v5, vcc, 0, v6, vcc
	v_mul_lo_u32 v8, s29, v7
	v_mul_lo_u32 v19, s28, v5
	v_mad_u64_u32 v[5:6], s[4:5], s28, v7, 0
	v_add3_u32 v6, v6, v19, v8
	v_sub_u32_e32 v8, v18, v6
	v_mov_b32_e32 v19, s29
	v_sub_co_u32_e32 v5, vcc, v17, v5
	v_subb_co_u32_e64 v8, s[4:5], v8, v19, vcc
	v_subrev_co_u32_e64 v17, s[4:5], s28, v5
	v_subbrev_co_u32_e64 v8, s[4:5], 0, v8, s[4:5]
	v_cmp_le_u32_e64 s[4:5], s29, v8
	v_subb_co_u32_e32 v6, vcc, v18, v6, vcc
	v_cndmask_b32_e64 v19, 0, -1, s[4:5]
	v_cmp_le_u32_e64 s[4:5], s28, v17
	v_cmp_le_u32_e32 vcc, s29, v6
	v_cndmask_b32_e64 v17, 0, -1, s[4:5]
	v_cmp_eq_u32_e64 s[4:5], s29, v8
	v_cndmask_b32_e64 v18, 0, -1, vcc
	v_cmp_le_u32_e32 vcc, s28, v5
	v_cndmask_b32_e64 v8, v19, v17, s[4:5]
	v_cndmask_b32_e64 v5, 0, -1, vcc
	v_cmp_eq_u32_e32 vcc, s29, v6
	v_add_co_u32_e64 v17, s[4:5], 2, v7
	v_add_co_u32_e64 v19, s[4:5], 1, v7
	v_cndmask_b32_e32 v5, v18, v5, vcc
	v_cmp_ne_u32_e32 vcc, 0, v8
	v_cndmask_b32_e32 v6, v19, v17, vcc
	v_cmp_ne_u32_e32 vcc, 0, v5
	v_cndmask_b32_e32 v5, v7, v6, vcc
	v_xor_b32_e32 v6, s26, v16
	v_xor_b32_e32 v5, v5, v6
	v_sub_co_u32_e32 v7, vcc, v5, v6
                                        ; implicit-def: $vgpr5_vgpr6
.LBB6_13:                               ;   in Loop: Header=BB6_11 Depth=2
	s_andn2_saveexec_b64 s[4:5], s[24:25]
	s_cbranch_execz .LBB6_15
; %bb.14:                               ;   in Loop: Header=BB6_11 Depth=2
	v_cvt_f32_u32_e32 v6, s44
	s_sub_i32 s19, 0, s44
	v_rcp_iflag_f32_e32 v6, v6
	v_mul_f32_e32 v6, 0x4f7ffffe, v6
	v_cvt_u32_f32_e32 v6, v6
	v_mul_lo_u32 v7, s19, v6
	v_mul_hi_u32 v7, v6, v7
	v_add_u32_e32 v6, v6, v7
	v_mul_hi_u32 v6, v5, v6
	v_mul_lo_u32 v7, v6, s44
	v_add_u32_e32 v8, 1, v6
	v_sub_u32_e32 v5, v5, v7
	v_subrev_u32_e32 v7, s44, v5
	v_cmp_le_u32_e32 vcc, s44, v5
	v_cndmask_b32_e32 v5, v5, v7, vcc
	v_cndmask_b32_e32 v6, v6, v8, vcc
	v_add_u32_e32 v7, 1, v6
	v_cmp_le_u32_e32 vcc, s44, v5
	v_cndmask_b32_e32 v7, v6, v7, vcc
.LBB6_15:                               ;   in Loop: Header=BB6_11 Depth=2
	s_or_b64 exec, exec, s[4:5]
	v_mul_hi_u32 v5, v1, v11
	v_mul_lo_u32 v6, v1, s9
	v_mul_lo_u32 v8, v5, s39
	v_sub_u32_e32 v17, 0, v6
	v_max_i32_e32 v17, v6, v17
	v_add_u32_e32 v16, 1, v5
	v_sub_u32_e32 v8, v1, v8
	v_cmp_le_u32_e32 vcc, s39, v8
	v_mul_hi_u32 v18, v17, v11
	v_cndmask_b32_e32 v5, v5, v16, vcc
	v_subrev_u32_e32 v16, s39, v8
	v_cndmask_b32_e32 v8, v8, v16, vcc
	v_add_u32_e32 v16, 1, v5
	v_cmp_le_u32_e32 vcc, s39, v8
	v_cndmask_b32_e32 v5, v5, v16, vcc
	v_mul_lo_u32 v16, v18, s39
	v_xor_b32_e32 v5, s43, v5
	v_subrev_u32_e32 v5, s43, v5
	v_mul_lo_u32 v8, v5, s9
	v_ashrrev_i32_e32 v5, 31, v6
	v_sub_u32_e32 v6, v17, v16
	v_add_u32_e32 v16, 1, v18
	v_cmp_le_u32_e32 vcc, s39, v6
	v_subrev_u32_e32 v17, s39, v6
	v_cndmask_b32_e32 v16, v18, v16, vcc
	v_cndmask_b32_e32 v6, v6, v17, vcc
	v_add_u32_e32 v17, 1, v16
	v_cmp_le_u32_e32 vcc, s39, v6
	v_xor_b32_e32 v5, s43, v5
	v_cndmask_b32_e32 v6, v16, v17, vcc
	v_xor_b32_e32 v18, v6, v5
	v_sub_u32_e32 v6, v18, v5
	v_add_u32_e32 v19, v6, v8
	v_sub_u32_e32 v16, v7, v19
	v_mov_b32_e32 v17, 0
	s_and_saveexec_b64 s[24:25], s[2:3]
	s_cbranch_execz .LBB6_10
; %bb.16:                               ;   in Loop: Header=BB6_11 Depth=2
	v_ashrrev_i32_e32 v17, 31, v19
	v_add_u32_e32 v7, v5, v7
	v_mad_u64_u32 v[5:6], s[4:5], s14, v19, v[3:4]
	v_mul_lo_u32 v19, s15, v19
	v_mul_lo_u32 v17, s14, v17
	v_sub_u32_e32 v7, v7, v8
	v_sub_u32_e32 v7, v7, v18
	v_cmp_gt_u32_e32 vcc, s45, v16
	v_add_u32_e32 v18, 1, v7
	v_add3_u32 v6, v19, v6, v17
	v_mov_b32_e32 v17, 0
	s_mov_b32 s19, 0
	s_mov_b64 s[26:27], 0
	s_branch .LBB6_18
.LBB6_17:                               ;   in Loop: Header=BB6_18 Depth=3
	s_or_b64 exec, exec, s[28:29]
	v_mov_b32_e32 v7, s13
	v_add_co_u32_e64 v5, s[4:5], s12, v5
	v_addc_co_u32_e64 v6, s[4:5], v6, v7, s[4:5]
	s_add_i32 s28, s19, 1
	v_cmp_eq_u32_e64 s[4:5], s19, v12
	s_or_b64 s[26:27], s[4:5], s[26:27]
	s_mov_b32 s19, s28
	s_andn2_b64 exec, exec, s[26:27]
	s_cbranch_execz .LBB6_9
.LBB6_18:                               ;   Parent Loop BB6_3 Depth=1
                                        ;     Parent Loop BB6_11 Depth=2
                                        ; =>    This Loop Header: Depth=3
                                        ;         Child Loop BB6_20 Depth 4
	s_and_saveexec_b64 s[28:29], vcc
	s_cbranch_execz .LBB6_17
; %bb.19:                               ;   in Loop: Header=BB6_18 Depth=3
	v_mov_b32_e32 v8, v6
	s_mov_b64 s[30:31], 0
	v_mov_b32_e32 v7, v5
	v_mov_b32_e32 v19, v18
.LBB6_20:                               ;   Parent Loop BB6_3 Depth=1
                                        ;     Parent Loop BB6_11 Depth=2
                                        ;       Parent Loop BB6_18 Depth=3
                                        ; =>      This Inner Loop Header: Depth=4
	global_load_ushort v20, v[7:8], off
	v_mov_b32_e32 v21, s15
	v_add_co_u32_e64 v7, s[4:5], s14, v7
	v_add_u32_e32 v19, -1, v19
	v_addc_co_u32_e64 v8, s[4:5], v8, v21, s[4:5]
	v_cmp_eq_u32_e64 s[4:5], 0, v19
	s_or_b64 s[30:31], s[4:5], s[30:31]
	s_waitcnt vmcnt(0)
	v_cvt_f32_f16_e32 v20, v20
	v_add_f32_e32 v17, v17, v20
	s_andn2_b64 exec, exec, s[30:31]
	s_cbranch_execnz .LBB6_20
; %bb.21:                               ;   in Loop: Header=BB6_18 Depth=3
	s_or_b64 exec, exec, s[30:31]
	s_branch .LBB6_17
.LBB6_22:
	s_endpgm
	.section	.rodata,"a",@progbits
	.p2align	6, 0x0
	.amdhsa_kernel _ZN2at6native12_GLOBAL__N_121adaptive_average_poolIN3c104HalfEEEvPKT_PS5_iiiilll
		.amdhsa_group_segment_fixed_size 0
		.amdhsa_private_segment_fixed_size 0
		.amdhsa_kernarg_size 312
		.amdhsa_user_sgpr_count 6
		.amdhsa_user_sgpr_private_segment_buffer 1
		.amdhsa_user_sgpr_dispatch_ptr 0
		.amdhsa_user_sgpr_queue_ptr 0
		.amdhsa_user_sgpr_kernarg_segment_ptr 1
		.amdhsa_user_sgpr_dispatch_id 0
		.amdhsa_user_sgpr_flat_scratch_init 0
		.amdhsa_user_sgpr_private_segment_size 0
		.amdhsa_uses_dynamic_stack 0
		.amdhsa_system_sgpr_private_segment_wavefront_offset 0
		.amdhsa_system_sgpr_workgroup_id_x 1
		.amdhsa_system_sgpr_workgroup_id_y 1
		.amdhsa_system_sgpr_workgroup_id_z 0
		.amdhsa_system_sgpr_workgroup_info 0
		.amdhsa_system_vgpr_workitem_id 1
		.amdhsa_next_free_vgpr 22
		.amdhsa_next_free_sgpr 50
		.amdhsa_reserve_vcc 1
		.amdhsa_reserve_flat_scratch 0
		.amdhsa_float_round_mode_32 0
		.amdhsa_float_round_mode_16_64 0
		.amdhsa_float_denorm_mode_32 3
		.amdhsa_float_denorm_mode_16_64 3
		.amdhsa_dx10_clamp 1
		.amdhsa_ieee_mode 1
		.amdhsa_fp16_overflow 0
		.amdhsa_exception_fp_ieee_invalid_op 0
		.amdhsa_exception_fp_denorm_src 0
		.amdhsa_exception_fp_ieee_div_zero 0
		.amdhsa_exception_fp_ieee_overflow 0
		.amdhsa_exception_fp_ieee_underflow 0
		.amdhsa_exception_fp_ieee_inexact 0
		.amdhsa_exception_int_div_zero 0
	.end_amdhsa_kernel
	.section	.text._ZN2at6native12_GLOBAL__N_121adaptive_average_poolIN3c104HalfEEEvPKT_PS5_iiiilll,"axG",@progbits,_ZN2at6native12_GLOBAL__N_121adaptive_average_poolIN3c104HalfEEEvPKT_PS5_iiiilll,comdat
.Lfunc_end6:
	.size	_ZN2at6native12_GLOBAL__N_121adaptive_average_poolIN3c104HalfEEEvPKT_PS5_iiiilll, .Lfunc_end6-_ZN2at6native12_GLOBAL__N_121adaptive_average_poolIN3c104HalfEEEvPKT_PS5_iiiilll
                                        ; -- End function
	.set _ZN2at6native12_GLOBAL__N_121adaptive_average_poolIN3c104HalfEEEvPKT_PS5_iiiilll.num_vgpr, 22
	.set _ZN2at6native12_GLOBAL__N_121adaptive_average_poolIN3c104HalfEEEvPKT_PS5_iiiilll.num_agpr, 0
	.set _ZN2at6native12_GLOBAL__N_121adaptive_average_poolIN3c104HalfEEEvPKT_PS5_iiiilll.numbered_sgpr, 50
	.set _ZN2at6native12_GLOBAL__N_121adaptive_average_poolIN3c104HalfEEEvPKT_PS5_iiiilll.num_named_barrier, 0
	.set _ZN2at6native12_GLOBAL__N_121adaptive_average_poolIN3c104HalfEEEvPKT_PS5_iiiilll.private_seg_size, 0
	.set _ZN2at6native12_GLOBAL__N_121adaptive_average_poolIN3c104HalfEEEvPKT_PS5_iiiilll.uses_vcc, 1
	.set _ZN2at6native12_GLOBAL__N_121adaptive_average_poolIN3c104HalfEEEvPKT_PS5_iiiilll.uses_flat_scratch, 0
	.set _ZN2at6native12_GLOBAL__N_121adaptive_average_poolIN3c104HalfEEEvPKT_PS5_iiiilll.has_dyn_sized_stack, 0
	.set _ZN2at6native12_GLOBAL__N_121adaptive_average_poolIN3c104HalfEEEvPKT_PS5_iiiilll.has_recursion, 0
	.set _ZN2at6native12_GLOBAL__N_121adaptive_average_poolIN3c104HalfEEEvPKT_PS5_iiiilll.has_indirect_call, 0
	.section	.AMDGPU.csdata,"",@progbits
; Kernel info:
; codeLenInByte = 2680
; TotalNumSgprs: 54
; NumVgprs: 22
; ScratchSize: 0
; MemoryBound: 0
; FloatMode: 240
; IeeeMode: 1
; LDSByteSize: 0 bytes/workgroup (compile time only)
; SGPRBlocks: 6
; VGPRBlocks: 5
; NumSGPRsForWavesPerEU: 54
; NumVGPRsForWavesPerEU: 22
; Occupancy: 10
; WaveLimiterHint : 0
; COMPUTE_PGM_RSRC2:SCRATCH_EN: 0
; COMPUTE_PGM_RSRC2:USER_SGPR: 6
; COMPUTE_PGM_RSRC2:TRAP_HANDLER: 0
; COMPUTE_PGM_RSRC2:TGID_X_EN: 1
; COMPUTE_PGM_RSRC2:TGID_Y_EN: 1
; COMPUTE_PGM_RSRC2:TGID_Z_EN: 0
; COMPUTE_PGM_RSRC2:TIDIG_COMP_CNT: 1
	.section	.text._ZN2at6native12_GLOBAL__N_121adaptive_average_poolIN3c108BFloat16EEEvPKT_PS5_iiiilll,"axG",@progbits,_ZN2at6native12_GLOBAL__N_121adaptive_average_poolIN3c108BFloat16EEEvPKT_PS5_iiiilll,comdat
	.globl	_ZN2at6native12_GLOBAL__N_121adaptive_average_poolIN3c108BFloat16EEEvPKT_PS5_iiiilll ; -- Begin function _ZN2at6native12_GLOBAL__N_121adaptive_average_poolIN3c108BFloat16EEEvPKT_PS5_iiiilll
	.p2align	8
	.type	_ZN2at6native12_GLOBAL__N_121adaptive_average_poolIN3c108BFloat16EEEvPKT_PS5_iiiilll,@function
_ZN2at6native12_GLOBAL__N_121adaptive_average_poolIN3c108BFloat16EEEvPKT_PS5_iiiilll: ; @_ZN2at6native12_GLOBAL__N_121adaptive_average_poolIN3c108BFloat16EEEvPKT_PS5_iiiilll
; %bb.0:
	s_load_dword s2, s[4:5], 0x44
	s_load_dwordx4 s[8:11], s[4:5], 0x10
	s_add_u32 s0, s4, 56
	s_addc_u32 s1, s5, 0
	s_waitcnt lgkmcnt(0)
	s_lshr_b32 s3, s2, 16
	s_mul_i32 s7, s7, s3
	v_add_u32_e32 v9, s7, v1
	v_cmp_gt_i32_e32 vcc, s10, v9
	s_and_saveexec_b64 s[12:13], vcc
	s_cbranch_execz .LBB7_22
; %bb.1:
	s_load_dwordx4 s[16:19], s[4:5], 0x0
	s_load_dwordx4 s[12:15], s[4:5], 0x20
	s_load_dwordx2 s[20:21], s[4:5], 0x30
	s_mul_i32 s4, s10, s6
	s_mul_i32 s4, s4, s11
	s_ashr_i32 s5, s4, 31
	s_load_dword s35, s[0:1], 0x4
	s_lshl_b64 s[0:1], s[4:5], 1
	s_waitcnt lgkmcnt(0)
	s_add_u32 s33, s18, s0
	s_addc_u32 s34, s19, s1
	s_abs_i32 s38, s10
	v_cvt_f32_u32_e32 v1, s38
	s_abs_i32 s39, s11
	v_cvt_f32_u32_e32 v2, s39
	s_and_b32 s36, s2, 0xffff
	v_rcp_iflag_f32_e32 v1, v1
	s_sub_i32 s2, 0, s38
	v_rcp_iflag_f32_e32 v2, v2
	s_ashr_i32 s4, s6, 31
	v_mul_f32_e32 v1, 0x4f7ffffe, v1
	v_cvt_u32_f32_e32 v1, v1
	v_mul_f32_e32 v2, 0x4f7ffffe, v2
	v_cvt_u32_f32_e32 v3, v2
	s_mul_i32 s35, s35, s3
	v_mul_lo_u32 v2, s2, v1
	s_sub_i32 s2, 0, s39
	v_mul_lo_u32 v4, s2, v3
	s_mul_hi_u32 s2, s12, s6
	s_mul_i32 s3, s12, s4
	v_mul_hi_u32 v2, v1, v2
	v_mul_hi_u32 v4, v3, v4
	s_add_i32 s2, s2, s3
	s_mul_i32 s3, s13, s6
	s_add_i32 s3, s2, s3
	s_mul_i32 s2, s12, s6
	s_ashr_i32 s37, s10, 31
	s_ashr_i32 s41, s9, 31
	;; [unrolled: 1-line block ×3, first 2 shown]
	s_lshl_b64 s[2:3], s[2:3], 1
	s_add_u32 s6, s16, s2
	s_mov_b32 s40, s10
	v_cmp_gt_i32_e64 s[0:1], s11, v0
	s_mov_b32 s42, s9
	s_mov_b32 s44, s11
	v_add_u32_e32 v10, v1, v2
	v_mov_b32_e32 v2, 0
	v_add_u32_e32 v11, v3, v4
	s_addc_u32 s7, s17, s3
	s_lshl_b64 s[12:13], s[14:15], 1
	s_lshl_b64 s[14:15], s[20:21], 1
	s_mov_b64 s[16:17], 0
	s_brev_b32 s45, -2
	s_movk_i32 s46, 0x7fff
	s_ashr_i32 s18, s37, 31
	v_mov_b32_e32 v12, 0x7fc0
	s_branch .LBB7_3
.LBB7_2:                                ;   in Loop: Header=BB7_3 Depth=1
	s_or_b64 exec, exec, s[20:21]
	v_add_u32_e32 v9, s35, v9
	v_cmp_le_i32_e32 vcc, s10, v9
	s_or_b64 s[16:17], vcc, s[16:17]
	s_andn2_b64 exec, exec, s[16:17]
	s_cbranch_execz .LBB7_22
.LBB7_3:                                ; =>This Loop Header: Depth=1
                                        ;     Child Loop BB7_11 Depth 2
                                        ;       Child Loop BB7_18 Depth 3
                                        ;         Child Loop BB7_20 Depth 4
	v_add_u32_e32 v1, 1, v9
	v_mad_i64_i32 v[3:4], s[2:3], v1, s8, -1
	v_mov_b32_e32 v5, v2
	v_or_b32_e32 v6, s37, v4
	v_cmp_ne_u64_e32 vcc, 0, v[5:6]
                                        ; implicit-def: $vgpr5_vgpr6
	s_and_saveexec_b64 s[2:3], vcc
	s_xor_b64 s[4:5], exec, s[2:3]
	s_cbranch_execnz .LBB7_6
; %bb.4:                                ;   in Loop: Header=BB7_3 Depth=1
	s_andn2_saveexec_b64 s[2:3], s[4:5]
	s_cbranch_execnz .LBB7_7
.LBB7_5:                                ;   in Loop: Header=BB7_3 Depth=1
	s_or_b64 exec, exec, s[2:3]
	s_and_saveexec_b64 s[20:21], s[0:1]
	s_cbranch_execz .LBB7_2
	s_branch .LBB7_8
.LBB7_6:                                ;   in Loop: Header=BB7_3 Depth=1
	s_add_u32 s2, s40, s18
	s_mov_b32 s19, s18
	s_addc_u32 s3, s37, s18
	s_xor_b64 s[20:21], s[2:3], s[18:19]
	v_cvt_f32_u32_e32 v1, s20
	v_cvt_f32_u32_e32 v5, s21
	s_sub_u32 s19, 0, s20
	s_subb_u32 s22, 0, s21
	v_mac_f32_e32 v1, 0x4f800000, v5
	v_rcp_f32_e32 v1, v1
	v_mul_f32_e32 v1, 0x5f7ffffc, v1
	v_mul_f32_e32 v5, 0x2f800000, v1
	v_trunc_f32_e32 v5, v5
	v_mac_f32_e32 v1, 0xcf800000, v5
	v_cvt_u32_f32_e32 v5, v5
	v_cvt_u32_f32_e32 v1, v1
	v_readfirstlane_b32 s23, v5
	v_readfirstlane_b32 s2, v1
	s_mul_i32 s3, s19, s23
	s_mul_hi_u32 s25, s19, s2
	s_mul_i32 s24, s22, s2
	s_add_i32 s3, s25, s3
	s_add_i32 s3, s3, s24
	s_mul_i32 s26, s19, s2
	s_mul_i32 s25, s2, s3
	s_mul_hi_u32 s27, s2, s26
	s_mul_hi_u32 s24, s2, s3
	s_add_u32 s25, s27, s25
	s_addc_u32 s24, 0, s24
	s_mul_hi_u32 s28, s23, s26
	s_mul_i32 s26, s23, s26
	s_add_u32 s25, s25, s26
	s_mul_hi_u32 s27, s23, s3
	s_addc_u32 s24, s24, s28
	s_addc_u32 s25, s27, 0
	s_mul_i32 s3, s23, s3
	s_add_u32 s3, s24, s3
	s_addc_u32 s24, 0, s25
	s_add_u32 s25, s2, s3
	s_cselect_b64 s[2:3], -1, 0
	s_cmp_lg_u64 s[2:3], 0
	s_addc_u32 s23, s23, s24
	s_mul_i32 s2, s19, s23
	s_mul_hi_u32 s3, s19, s25
	s_add_i32 s2, s3, s2
	s_mul_i32 s22, s22, s25
	s_add_i32 s2, s2, s22
	s_mul_i32 s19, s19, s25
	s_mul_hi_u32 s22, s23, s19
	s_mul_i32 s24, s23, s19
	s_mul_i32 s27, s25, s2
	s_mul_hi_u32 s19, s25, s19
	s_mul_hi_u32 s26, s25, s2
	s_add_u32 s19, s19, s27
	s_addc_u32 s26, 0, s26
	s_add_u32 s19, s19, s24
	s_mul_hi_u32 s3, s23, s2
	s_addc_u32 s19, s26, s22
	s_addc_u32 s3, s3, 0
	s_mul_i32 s2, s23, s2
	s_add_u32 s2, s19, s2
	s_addc_u32 s19, 0, s3
	s_add_u32 s22, s25, s2
	s_cselect_b64 s[2:3], -1, 0
	v_ashrrev_i32_e32 v1, 31, v4
	s_cmp_lg_u64 s[2:3], 0
	v_add_co_u32_e32 v3, vcc, v3, v1
	s_addc_u32 s19, s23, s19
	v_xor_b32_e32 v7, v3, v1
	v_addc_co_u32_e32 v5, vcc, v4, v1, vcc
	v_mad_u64_u32 v[3:4], s[2:3], v7, s19, 0
	v_mul_hi_u32 v6, v7, s22
	v_xor_b32_e32 v8, v5, v1
	v_xor_b32_e32 v1, s18, v1
	v_add_co_u32_e32 v13, vcc, v6, v3
	v_addc_co_u32_e32 v14, vcc, 0, v4, vcc
	v_mad_u64_u32 v[3:4], s[2:3], v8, s22, 0
	v_mad_u64_u32 v[5:6], s[2:3], v8, s19, 0
	v_add_co_u32_e32 v3, vcc, v13, v3
	v_addc_co_u32_e32 v3, vcc, v14, v4, vcc
	v_addc_co_u32_e32 v4, vcc, 0, v6, vcc
	v_add_co_u32_e32 v5, vcc, v3, v5
	v_addc_co_u32_e32 v3, vcc, 0, v4, vcc
	v_mul_lo_u32 v6, s21, v5
	v_mul_lo_u32 v13, s20, v3
	v_mad_u64_u32 v[3:4], s[2:3], s20, v5, 0
	v_add3_u32 v4, v4, v13, v6
	v_sub_u32_e32 v6, v8, v4
	v_mov_b32_e32 v13, s21
	v_sub_co_u32_e32 v3, vcc, v7, v3
	v_subb_co_u32_e64 v6, s[2:3], v6, v13, vcc
	v_subrev_co_u32_e64 v7, s[2:3], s20, v3
	v_subbrev_co_u32_e64 v6, s[2:3], 0, v6, s[2:3]
	v_cmp_le_u32_e64 s[2:3], s21, v6
	v_subb_co_u32_e32 v4, vcc, v8, v4, vcc
	v_cndmask_b32_e64 v13, 0, -1, s[2:3]
	v_cmp_le_u32_e64 s[2:3], s20, v7
	v_cmp_le_u32_e32 vcc, s21, v4
	v_cndmask_b32_e64 v7, 0, -1, s[2:3]
	v_cmp_eq_u32_e64 s[2:3], s21, v6
	v_cndmask_b32_e64 v8, 0, -1, vcc
	v_cmp_le_u32_e32 vcc, s20, v3
	v_cndmask_b32_e64 v6, v13, v7, s[2:3]
	v_cndmask_b32_e64 v3, 0, -1, vcc
	v_cmp_eq_u32_e32 vcc, s21, v4
	v_add_co_u32_e64 v7, s[2:3], 2, v5
	v_add_co_u32_e64 v13, s[2:3], 1, v5
	v_cndmask_b32_e32 v3, v8, v3, vcc
	v_cmp_ne_u32_e32 vcc, 0, v6
	v_cndmask_b32_e32 v4, v13, v7, vcc
	v_cmp_ne_u32_e32 vcc, 0, v3
	v_cndmask_b32_e32 v3, v5, v4, vcc
	v_xor_b32_e32 v3, v3, v1
	v_sub_co_u32_e32 v5, vcc, v3, v1
                                        ; implicit-def: $vgpr3_vgpr4
	s_andn2_saveexec_b64 s[2:3], s[4:5]
	s_cbranch_execz .LBB7_5
.LBB7_7:                                ;   in Loop: Header=BB7_3 Depth=1
	v_cvt_f32_u32_e32 v1, s40
	s_sub_i32 s4, 0, s40
	v_rcp_iflag_f32_e32 v1, v1
	v_mul_f32_e32 v1, 0x4f7ffffe, v1
	v_cvt_u32_f32_e32 v1, v1
	v_mul_lo_u32 v4, s4, v1
	v_mul_hi_u32 v4, v1, v4
	v_add_u32_e32 v1, v1, v4
	v_mul_hi_u32 v1, v3, v1
	v_mul_lo_u32 v4, v1, s40
	v_add_u32_e32 v5, 1, v1
	v_sub_u32_e32 v3, v3, v4
	v_subrev_u32_e32 v4, s40, v3
	v_cmp_le_u32_e32 vcc, s40, v3
	v_cndmask_b32_e32 v3, v3, v4, vcc
	v_cndmask_b32_e32 v1, v1, v5, vcc
	v_add_u32_e32 v4, 1, v1
	v_cmp_le_u32_e32 vcc, s40, v3
	v_cndmask_b32_e32 v5, v1, v4, vcc
	s_or_b64 exec, exec, s[2:3]
	s_and_saveexec_b64 s[20:21], s[0:1]
	s_cbranch_execz .LBB7_2
.LBB7_8:                                ;   in Loop: Header=BB7_3 Depth=1
	v_sub_u32_e32 v1, 0, v9
	v_max_i32_e32 v1, v9, v1
	v_mul_hi_u32 v3, v1, v10
	v_ashrrev_i32_e32 v6, 31, v9
	v_xor_b32_e32 v6, s37, v6
	s_mov_b64 s[22:23], 0
	v_mul_lo_u32 v4, v3, s38
	v_add_u32_e32 v7, 1, v3
	v_sub_u32_e32 v1, v1, v4
	v_cmp_le_u32_e32 vcc, s38, v1
	v_subrev_u32_e32 v4, s38, v1
	v_cndmask_b32_e32 v3, v3, v7, vcc
	v_cndmask_b32_e32 v1, v1, v4, vcc
	v_add_u32_e32 v4, 1, v3
	v_cmp_le_u32_e32 vcc, s38, v1
	v_cndmask_b32_e32 v1, v3, v4, vcc
	v_xor_b32_e32 v1, v1, v6
	v_sub_u32_e32 v4, v1, v6
	v_mul_lo_u32 v1, v4, s10
	v_sub_u32_e32 v1, v9, v1
	v_mul_lo_u32 v1, v1, s8
	v_sub_u32_e32 v3, 0, v1
	v_max_i32_e32 v6, v1, v3
	v_mul_hi_u32 v7, v6, v10
	v_ashrrev_i32_e32 v1, 31, v1
	v_xor_b32_e32 v1, s37, v1
	v_mul_lo_u32 v3, v9, s11
	v_mul_lo_u32 v8, v7, s38
	v_add_u32_e32 v13, 1, v7
	v_sub_u32_e32 v6, v6, v8
	v_cmp_le_u32_e32 vcc, s38, v6
	v_subrev_u32_e32 v8, s38, v6
	v_cndmask_b32_e32 v7, v7, v13, vcc
	v_cndmask_b32_e32 v6, v6, v8, vcc
	v_add_u32_e32 v8, 1, v7
	v_cmp_le_u32_e32 vcc, s38, v6
	v_cndmask_b32_e32 v6, v7, v8, vcc
	v_xor_b32_e32 v6, v6, v1
	v_sub_u32_e32 v1, v6, v1
	v_mad_u64_u32 v[6:7], s[2:3], v4, s8, v[1:2]
	v_ashrrev_i32_e32 v4, 31, v3
	v_lshlrev_b64 v[7:8], 1, v[3:4]
	v_ashrrev_i32_e32 v3, 31, v6
	v_mul_lo_u32 v17, s12, v3
	v_mov_b32_e32 v3, s6
	v_sub_u32_e32 v13, v5, v6
	v_mov_b32_e32 v4, s7
	v_add_u32_e32 v5, 1, v13
	v_mul_lo_u32 v18, s13, v6
	v_mad_u64_u32 v[3:4], s[2:3], s12, v6, v[3:4]
	v_cvt_f32_i32_e32 v16, v5
	v_mov_b32_e32 v1, s34
	v_add_co_u32_e32 v14, vcc, s33, v7
	v_addc_co_u32_e32 v15, vcc, v1, v8, vcc
	v_cmp_gt_u32_e64 s[2:3], s45, v13
	v_add3_u32 v4, v18, v4, v17
	v_mov_b32_e32 v1, v0
	s_branch .LBB7_11
.LBB7_9:                                ;   in Loop: Header=BB7_11 Depth=2
	s_or_b64 exec, exec, s[26:27]
.LBB7_10:                               ;   in Loop: Header=BB7_11 Depth=2
	s_or_b64 exec, exec, s[24:25]
	v_div_scale_f32 v5, s[4:5], v16, v16, v18
	v_div_scale_f32 v6, vcc, v18, v16, v18
	v_rcp_f32_e32 v7, v5
	v_fma_f32 v8, -v5, v7, 1.0
	v_fmac_f32_e32 v7, v8, v7
	v_mul_f32_e32 v8, v6, v7
	v_fma_f32 v19, -v5, v8, v6
	v_fmac_f32_e32 v8, v19, v7
	v_fma_f32 v5, -v5, v8, v6
	v_div_fmas_f32 v5, v5, v7, v8
	v_add_u32_e32 v6, 1, v17
	v_cvt_f32_i32_e32 v7, v6
	v_div_fixup_f32 v8, v5, v16, v18
	v_div_scale_f32 v5, s[4:5], v7, v7, v8
	v_div_scale_f32 v6, vcc, v8, v7, v8
	v_rcp_f32_e32 v17, v5
	v_fma_f32 v18, -v5, v17, 1.0
	v_fmac_f32_e32 v17, v18, v17
	v_mul_f32_e32 v18, v6, v17
	v_fma_f32 v19, -v5, v18, v6
	v_fmac_f32_e32 v18, v19, v17
	v_fma_f32 v5, -v5, v18, v6
	v_div_fmas_f32 v17, v5, v17, v18
	v_lshlrev_b64 v[5:6], 1, v[1:2]
	v_add_u32_e32 v1, s36, v1
	v_add_co_u32_e32 v5, vcc, v14, v5
	v_addc_co_u32_e32 v6, vcc, v15, v6, vcc
	v_cmp_le_i32_e64 s[4:5], s11, v1
	s_or_b64 s[22:23], s[4:5], s[22:23]
	v_div_fixup_f32 v7, v17, v7, v8
	v_bfe_u32 v8, v7, 16, 1
	v_cmp_o_f32_e32 vcc, v7, v7
	v_add3_u32 v7, v7, v8, s46
	v_cndmask_b32_sdwa v7, v12, v7, vcc dst_sel:DWORD dst_unused:UNUSED_PAD src0_sel:DWORD src1_sel:WORD_1
	global_store_short v[5:6], v7, off
	s_andn2_b64 exec, exec, s[22:23]
	s_cbranch_execz .LBB7_2
.LBB7_11:                               ;   Parent Loop BB7_3 Depth=1
                                        ; =>  This Loop Header: Depth=2
                                        ;       Child Loop BB7_18 Depth 3
                                        ;         Child Loop BB7_20 Depth 4
	v_add_u32_e32 v7, 1, v1
	v_mad_u64_u32 v[5:6], s[4:5], v7, s42, -1
	v_mad_u64_u32 v[6:7], s[4:5], v7, s41, v[6:7]
	v_mov_b32_e32 v7, v2
	v_or_b32_e32 v8, s43, v6
	v_cmp_ne_u64_e32 vcc, 0, v[7:8]
                                        ; implicit-def: $vgpr7_vgpr8
	s_and_saveexec_b64 s[4:5], vcc
	s_xor_b64 s[24:25], exec, s[4:5]
	s_cbranch_execz .LBB7_13
; %bb.12:                               ;   in Loop: Header=BB7_11 Depth=2
	s_ashr_i32 s26, s43, 31
	s_add_u32 s4, s44, s26
	s_mov_b32 s27, s26
	s_addc_u32 s5, s43, s26
	s_xor_b64 s[28:29], s[4:5], s[26:27]
	v_cvt_f32_u32_e32 v7, s28
	v_cvt_f32_u32_e32 v8, s29
	s_sub_u32 s19, 0, s28
	s_subb_u32 s27, 0, s29
	v_ashrrev_i32_e32 v17, 31, v6
	v_mac_f32_e32 v7, 0x4f800000, v8
	v_rcp_f32_e32 v7, v7
	v_add_co_u32_e32 v5, vcc, v5, v17
	v_xor_b32_e32 v18, v5, v17
	v_mul_f32_e32 v7, 0x5f7ffffc, v7
	v_mul_f32_e32 v8, 0x2f800000, v7
	v_trunc_f32_e32 v8, v8
	v_mac_f32_e32 v7, 0xcf800000, v8
	v_cvt_u32_f32_e32 v8, v8
	v_cvt_u32_f32_e32 v7, v7
	v_readfirstlane_b32 s30, v8
	v_readfirstlane_b32 s4, v7
	s_mul_i32 s5, s19, s30
	s_mul_hi_u32 s47, s19, s4
	s_mul_i32 s31, s27, s4
	s_add_i32 s5, s47, s5
	s_add_i32 s5, s5, s31
	s_mul_i32 s48, s19, s4
	s_mul_i32 s47, s4, s5
	s_mul_hi_u32 s49, s4, s48
	s_mul_hi_u32 s31, s4, s5
	s_add_u32 s47, s49, s47
	s_addc_u32 s31, 0, s31
	s_mul_hi_u32 s50, s30, s48
	s_mul_i32 s48, s30, s48
	s_add_u32 s47, s47, s48
	s_mul_hi_u32 s49, s30, s5
	s_addc_u32 s31, s31, s50
	s_addc_u32 s47, s49, 0
	s_mul_i32 s5, s30, s5
	s_add_u32 s5, s31, s5
	s_addc_u32 s31, 0, s47
	s_add_u32 s47, s4, s5
	s_cselect_b64 s[4:5], -1, 0
	s_cmp_lg_u64 s[4:5], 0
	s_addc_u32 s30, s30, s31
	s_mul_i32 s4, s19, s30
	s_mul_hi_u32 s5, s19, s47
	s_add_i32 s4, s5, s4
	s_mul_i32 s27, s27, s47
	s_add_i32 s4, s4, s27
	s_mul_i32 s19, s19, s47
	s_mul_hi_u32 s27, s30, s19
	s_mul_i32 s31, s30, s19
	s_mul_i32 s49, s47, s4
	s_mul_hi_u32 s19, s47, s19
	s_mul_hi_u32 s48, s47, s4
	s_add_u32 s19, s19, s49
	s_addc_u32 s48, 0, s48
	s_add_u32 s19, s19, s31
	s_mul_hi_u32 s5, s30, s4
	s_addc_u32 s19, s48, s27
	s_addc_u32 s5, s5, 0
	s_mul_i32 s4, s30, s4
	s_add_u32 s4, s19, s4
	s_addc_u32 s19, 0, s5
	s_add_u32 s27, s47, s4
	s_cselect_b64 s[4:5], -1, 0
	s_cmp_lg_u64 s[4:5], 0
	s_addc_u32 s19, s30, s19
	v_addc_co_u32_e32 v7, vcc, v6, v17, vcc
	v_mad_u64_u32 v[5:6], s[4:5], v18, s19, 0
	v_mul_hi_u32 v8, v18, s27
	v_xor_b32_e32 v19, v7, v17
	v_add_co_u32_e32 v20, vcc, v8, v5
	v_addc_co_u32_e32 v21, vcc, 0, v6, vcc
	v_mad_u64_u32 v[5:6], s[4:5], v19, s27, 0
	v_mad_u64_u32 v[7:8], s[4:5], v19, s19, 0
	v_add_co_u32_e32 v5, vcc, v20, v5
	v_addc_co_u32_e32 v5, vcc, v21, v6, vcc
	v_addc_co_u32_e32 v6, vcc, 0, v8, vcc
	v_add_co_u32_e32 v7, vcc, v5, v7
	v_addc_co_u32_e32 v5, vcc, 0, v6, vcc
	v_mul_lo_u32 v8, s29, v7
	v_mul_lo_u32 v20, s28, v5
	v_mad_u64_u32 v[5:6], s[4:5], s28, v7, 0
	v_add3_u32 v6, v6, v20, v8
	v_sub_u32_e32 v8, v19, v6
	v_mov_b32_e32 v20, s29
	v_sub_co_u32_e32 v5, vcc, v18, v5
	v_subb_co_u32_e64 v8, s[4:5], v8, v20, vcc
	v_subrev_co_u32_e64 v18, s[4:5], s28, v5
	v_subbrev_co_u32_e64 v8, s[4:5], 0, v8, s[4:5]
	v_cmp_le_u32_e64 s[4:5], s29, v8
	v_subb_co_u32_e32 v6, vcc, v19, v6, vcc
	v_cndmask_b32_e64 v20, 0, -1, s[4:5]
	v_cmp_le_u32_e64 s[4:5], s28, v18
	v_cmp_le_u32_e32 vcc, s29, v6
	v_cndmask_b32_e64 v18, 0, -1, s[4:5]
	v_cmp_eq_u32_e64 s[4:5], s29, v8
	v_cndmask_b32_e64 v19, 0, -1, vcc
	v_cmp_le_u32_e32 vcc, s28, v5
	v_cndmask_b32_e64 v8, v20, v18, s[4:5]
	v_cndmask_b32_e64 v5, 0, -1, vcc
	v_cmp_eq_u32_e32 vcc, s29, v6
	v_add_co_u32_e64 v18, s[4:5], 2, v7
	v_add_co_u32_e64 v20, s[4:5], 1, v7
	v_cndmask_b32_e32 v5, v19, v5, vcc
	v_cmp_ne_u32_e32 vcc, 0, v8
	v_cndmask_b32_e32 v6, v20, v18, vcc
	v_cmp_ne_u32_e32 vcc, 0, v5
	v_cndmask_b32_e32 v5, v7, v6, vcc
	v_xor_b32_e32 v6, s26, v17
	v_xor_b32_e32 v5, v5, v6
	v_sub_co_u32_e32 v7, vcc, v5, v6
                                        ; implicit-def: $vgpr5_vgpr6
.LBB7_13:                               ;   in Loop: Header=BB7_11 Depth=2
	s_andn2_saveexec_b64 s[4:5], s[24:25]
	s_cbranch_execz .LBB7_15
; %bb.14:                               ;   in Loop: Header=BB7_11 Depth=2
	v_cvt_f32_u32_e32 v6, s44
	s_sub_i32 s19, 0, s44
	v_rcp_iflag_f32_e32 v6, v6
	v_mul_f32_e32 v6, 0x4f7ffffe, v6
	v_cvt_u32_f32_e32 v6, v6
	v_mul_lo_u32 v7, s19, v6
	v_mul_hi_u32 v7, v6, v7
	v_add_u32_e32 v6, v6, v7
	v_mul_hi_u32 v6, v5, v6
	v_mul_lo_u32 v7, v6, s44
	v_add_u32_e32 v8, 1, v6
	v_sub_u32_e32 v5, v5, v7
	v_subrev_u32_e32 v7, s44, v5
	v_cmp_le_u32_e32 vcc, s44, v5
	v_cndmask_b32_e32 v5, v5, v7, vcc
	v_cndmask_b32_e32 v6, v6, v8, vcc
	v_add_u32_e32 v7, 1, v6
	v_cmp_le_u32_e32 vcc, s44, v5
	v_cndmask_b32_e32 v7, v6, v7, vcc
.LBB7_15:                               ;   in Loop: Header=BB7_11 Depth=2
	s_or_b64 exec, exec, s[4:5]
	v_mul_hi_u32 v5, v1, v11
	v_mul_lo_u32 v6, v1, s9
	v_mul_lo_u32 v8, v5, s39
	v_sub_u32_e32 v18, 0, v6
	v_max_i32_e32 v18, v6, v18
	v_add_u32_e32 v17, 1, v5
	v_sub_u32_e32 v8, v1, v8
	v_cmp_le_u32_e32 vcc, s39, v8
	v_mul_hi_u32 v19, v18, v11
	v_cndmask_b32_e32 v5, v5, v17, vcc
	v_subrev_u32_e32 v17, s39, v8
	v_cndmask_b32_e32 v8, v8, v17, vcc
	v_add_u32_e32 v17, 1, v5
	v_cmp_le_u32_e32 vcc, s39, v8
	v_cndmask_b32_e32 v5, v5, v17, vcc
	v_mul_lo_u32 v17, v19, s39
	v_xor_b32_e32 v5, s43, v5
	v_subrev_u32_e32 v5, s43, v5
	v_mul_lo_u32 v8, v5, s9
	v_ashrrev_i32_e32 v5, 31, v6
	v_sub_u32_e32 v6, v18, v17
	v_add_u32_e32 v17, 1, v19
	v_cmp_le_u32_e32 vcc, s39, v6
	v_subrev_u32_e32 v18, s39, v6
	v_cndmask_b32_e32 v17, v19, v17, vcc
	v_cndmask_b32_e32 v6, v6, v18, vcc
	v_add_u32_e32 v18, 1, v17
	v_cmp_le_u32_e32 vcc, s39, v6
	v_xor_b32_e32 v5, s43, v5
	v_cndmask_b32_e32 v6, v17, v18, vcc
	v_xor_b32_e32 v19, v6, v5
	v_sub_u32_e32 v6, v19, v5
	v_add_u32_e32 v20, v6, v8
	v_sub_u32_e32 v17, v7, v20
	v_mov_b32_e32 v18, 0
	s_and_saveexec_b64 s[24:25], s[2:3]
	s_cbranch_execz .LBB7_10
; %bb.16:                               ;   in Loop: Header=BB7_11 Depth=2
	v_ashrrev_i32_e32 v18, 31, v20
	v_add_u32_e32 v7, v5, v7
	v_mad_u64_u32 v[5:6], s[4:5], s14, v20, v[3:4]
	v_mul_lo_u32 v20, s15, v20
	v_mul_lo_u32 v18, s14, v18
	v_sub_u32_e32 v7, v7, v8
	v_sub_u32_e32 v7, v7, v19
	v_cmp_gt_u32_e32 vcc, s45, v17
	v_add_u32_e32 v19, 1, v7
	v_add3_u32 v6, v20, v6, v18
	v_mov_b32_e32 v18, 0
	s_mov_b32 s19, 0
	s_mov_b64 s[26:27], 0
	s_branch .LBB7_18
.LBB7_17:                               ;   in Loop: Header=BB7_18 Depth=3
	s_or_b64 exec, exec, s[28:29]
	v_mov_b32_e32 v7, s13
	v_add_co_u32_e64 v5, s[4:5], s12, v5
	v_addc_co_u32_e64 v6, s[4:5], v6, v7, s[4:5]
	s_add_i32 s28, s19, 1
	v_cmp_eq_u32_e64 s[4:5], s19, v13
	s_or_b64 s[26:27], s[4:5], s[26:27]
	s_mov_b32 s19, s28
	s_andn2_b64 exec, exec, s[26:27]
	s_cbranch_execz .LBB7_9
.LBB7_18:                               ;   Parent Loop BB7_3 Depth=1
                                        ;     Parent Loop BB7_11 Depth=2
                                        ; =>    This Loop Header: Depth=3
                                        ;         Child Loop BB7_20 Depth 4
	s_and_saveexec_b64 s[28:29], vcc
	s_cbranch_execz .LBB7_17
; %bb.19:                               ;   in Loop: Header=BB7_18 Depth=3
	v_mov_b32_e32 v8, v6
	s_mov_b64 s[30:31], 0
	v_mov_b32_e32 v7, v5
	v_mov_b32_e32 v20, v19
.LBB7_20:                               ;   Parent Loop BB7_3 Depth=1
                                        ;     Parent Loop BB7_11 Depth=2
                                        ;       Parent Loop BB7_18 Depth=3
                                        ; =>      This Inner Loop Header: Depth=4
	global_load_ushort v21, v[7:8], off
	v_mov_b32_e32 v22, s15
	v_add_co_u32_e64 v7, s[4:5], s14, v7
	v_add_u32_e32 v20, -1, v20
	v_addc_co_u32_e64 v8, s[4:5], v8, v22, s[4:5]
	v_cmp_eq_u32_e64 s[4:5], 0, v20
	s_or_b64 s[30:31], s[4:5], s[30:31]
	s_waitcnt vmcnt(0)
	v_lshlrev_b32_e32 v21, 16, v21
	v_add_f32_e32 v18, v18, v21
	s_andn2_b64 exec, exec, s[30:31]
	s_cbranch_execnz .LBB7_20
; %bb.21:                               ;   in Loop: Header=BB7_18 Depth=3
	s_or_b64 exec, exec, s[30:31]
	s_branch .LBB7_17
.LBB7_22:
	s_endpgm
	.section	.rodata,"a",@progbits
	.p2align	6, 0x0
	.amdhsa_kernel _ZN2at6native12_GLOBAL__N_121adaptive_average_poolIN3c108BFloat16EEEvPKT_PS5_iiiilll
		.amdhsa_group_segment_fixed_size 0
		.amdhsa_private_segment_fixed_size 0
		.amdhsa_kernarg_size 312
		.amdhsa_user_sgpr_count 6
		.amdhsa_user_sgpr_private_segment_buffer 1
		.amdhsa_user_sgpr_dispatch_ptr 0
		.amdhsa_user_sgpr_queue_ptr 0
		.amdhsa_user_sgpr_kernarg_segment_ptr 1
		.amdhsa_user_sgpr_dispatch_id 0
		.amdhsa_user_sgpr_flat_scratch_init 0
		.amdhsa_user_sgpr_private_segment_size 0
		.amdhsa_uses_dynamic_stack 0
		.amdhsa_system_sgpr_private_segment_wavefront_offset 0
		.amdhsa_system_sgpr_workgroup_id_x 1
		.amdhsa_system_sgpr_workgroup_id_y 1
		.amdhsa_system_sgpr_workgroup_id_z 0
		.amdhsa_system_sgpr_workgroup_info 0
		.amdhsa_system_vgpr_workitem_id 1
		.amdhsa_next_free_vgpr 23
		.amdhsa_next_free_sgpr 51
		.amdhsa_reserve_vcc 1
		.amdhsa_reserve_flat_scratch 0
		.amdhsa_float_round_mode_32 0
		.amdhsa_float_round_mode_16_64 0
		.amdhsa_float_denorm_mode_32 3
		.amdhsa_float_denorm_mode_16_64 3
		.amdhsa_dx10_clamp 1
		.amdhsa_ieee_mode 1
		.amdhsa_fp16_overflow 0
		.amdhsa_exception_fp_ieee_invalid_op 0
		.amdhsa_exception_fp_denorm_src 0
		.amdhsa_exception_fp_ieee_div_zero 0
		.amdhsa_exception_fp_ieee_overflow 0
		.amdhsa_exception_fp_ieee_underflow 0
		.amdhsa_exception_fp_ieee_inexact 0
		.amdhsa_exception_int_div_zero 0
	.end_amdhsa_kernel
	.section	.text._ZN2at6native12_GLOBAL__N_121adaptive_average_poolIN3c108BFloat16EEEvPKT_PS5_iiiilll,"axG",@progbits,_ZN2at6native12_GLOBAL__N_121adaptive_average_poolIN3c108BFloat16EEEvPKT_PS5_iiiilll,comdat
.Lfunc_end7:
	.size	_ZN2at6native12_GLOBAL__N_121adaptive_average_poolIN3c108BFloat16EEEvPKT_PS5_iiiilll, .Lfunc_end7-_ZN2at6native12_GLOBAL__N_121adaptive_average_poolIN3c108BFloat16EEEvPKT_PS5_iiiilll
                                        ; -- End function
	.set _ZN2at6native12_GLOBAL__N_121adaptive_average_poolIN3c108BFloat16EEEvPKT_PS5_iiiilll.num_vgpr, 23
	.set _ZN2at6native12_GLOBAL__N_121adaptive_average_poolIN3c108BFloat16EEEvPKT_PS5_iiiilll.num_agpr, 0
	.set _ZN2at6native12_GLOBAL__N_121adaptive_average_poolIN3c108BFloat16EEEvPKT_PS5_iiiilll.numbered_sgpr, 51
	.set _ZN2at6native12_GLOBAL__N_121adaptive_average_poolIN3c108BFloat16EEEvPKT_PS5_iiiilll.num_named_barrier, 0
	.set _ZN2at6native12_GLOBAL__N_121adaptive_average_poolIN3c108BFloat16EEEvPKT_PS5_iiiilll.private_seg_size, 0
	.set _ZN2at6native12_GLOBAL__N_121adaptive_average_poolIN3c108BFloat16EEEvPKT_PS5_iiiilll.uses_vcc, 1
	.set _ZN2at6native12_GLOBAL__N_121adaptive_average_poolIN3c108BFloat16EEEvPKT_PS5_iiiilll.uses_flat_scratch, 0
	.set _ZN2at6native12_GLOBAL__N_121adaptive_average_poolIN3c108BFloat16EEEvPKT_PS5_iiiilll.has_dyn_sized_stack, 0
	.set _ZN2at6native12_GLOBAL__N_121adaptive_average_poolIN3c108BFloat16EEEvPKT_PS5_iiiilll.has_recursion, 0
	.set _ZN2at6native12_GLOBAL__N_121adaptive_average_poolIN3c108BFloat16EEEvPKT_PS5_iiiilll.has_indirect_call, 0
	.section	.AMDGPU.csdata,"",@progbits
; Kernel info:
; codeLenInByte = 2720
; TotalNumSgprs: 55
; NumVgprs: 23
; ScratchSize: 0
; MemoryBound: 0
; FloatMode: 240
; IeeeMode: 1
; LDSByteSize: 0 bytes/workgroup (compile time only)
; SGPRBlocks: 6
; VGPRBlocks: 5
; NumSGPRsForWavesPerEU: 55
; NumVGPRsForWavesPerEU: 23
; Occupancy: 10
; WaveLimiterHint : 0
; COMPUTE_PGM_RSRC2:SCRATCH_EN: 0
; COMPUTE_PGM_RSRC2:USER_SGPR: 6
; COMPUTE_PGM_RSRC2:TRAP_HANDLER: 0
; COMPUTE_PGM_RSRC2:TGID_X_EN: 1
; COMPUTE_PGM_RSRC2:TGID_Y_EN: 1
; COMPUTE_PGM_RSRC2:TGID_Z_EN: 0
; COMPUTE_PGM_RSRC2:TIDIG_COMP_CNT: 1
	.section	.text._ZN2at6native12_GLOBAL__N_131adaptive_average_gradinput_nhwcIidEEvPT0_PKS3_iiiiiiiiT_S7_S7_S7_,"axG",@progbits,_ZN2at6native12_GLOBAL__N_131adaptive_average_gradinput_nhwcIidEEvPT0_PKS3_iiiiiiiiT_S7_S7_S7_,comdat
	.globl	_ZN2at6native12_GLOBAL__N_131adaptive_average_gradinput_nhwcIidEEvPT0_PKS3_iiiiiiiiT_S7_S7_S7_ ; -- Begin function _ZN2at6native12_GLOBAL__N_131adaptive_average_gradinput_nhwcIidEEvPT0_PKS3_iiiiiiiiT_S7_S7_S7_
	.p2align	8
	.type	_ZN2at6native12_GLOBAL__N_131adaptive_average_gradinput_nhwcIidEEvPT0_PKS3_iiiiiiiiT_S7_S7_S7_,@function
_ZN2at6native12_GLOBAL__N_131adaptive_average_gradinput_nhwcIidEEvPT0_PKS3_iiiiiiiiT_S7_S7_S7_: ; @_ZN2at6native12_GLOBAL__N_131adaptive_average_gradinput_nhwcIidEEvPT0_PKS3_iiiiiiiiT_S7_S7_S7_
; %bb.0:
	s_load_dwordx4 s[24:27], s[4:5], 0x44
	s_load_dwordx4 s[20:23], s[4:5], 0x30
	;; [unrolled: 1-line block ×3, first 2 shown]
	s_load_dwordx8 s[12:19], s[4:5], 0x10
	s_waitcnt lgkmcnt(0)
	s_lshr_b32 s33, s26, 16
	s_and_b32 s9, s26, 0xffff
	v_mad_u32_u24 v6, v2, s33, v1
	v_mad_u64_u32 v[3:4], s[0:1], v6, s9, v[0:1]
	s_and_b32 s36, s27, 0xffff
	s_mul_i32 s10, s33, s9
	s_mul_i32 s10, s10, s36
	v_cmp_gt_i32_e32 vcc, s15, v3
	s_and_saveexec_b64 s[2:3], vcc
	s_cbranch_execz .LBB8_3
; %bb.1:
	s_abs_i32 s11, s15
	v_cvt_f32_u32_e32 v4, s11
	s_sub_i32 s4, 0, s11
	s_mul_i32 s1, s17, s33
	s_add_i32 s0, s15, s17
	v_rcp_iflag_f32_e32 v5, v4
	v_mul_lo_u32 v4, s17, v3
	s_mul_i32 s37, s1, s9
	s_ashr_i32 s26, s15, 31
	v_mul_f32_e32 v5, 0x4f7ffffe, v5
	v_cvt_u32_f32_e32 v8, v5
	s_mov_b32 s27, 0
	v_lshl_add_u32 v5, v3, 2, 0
	s_lshl_b32 s34, s10, 2
	v_mul_lo_u32 v7, s4, v8
	s_lshl_b32 s35, s15, 2
	s_mov_b64 s[4:5], 0
	s_mul_i32 s37, s37, s36
	v_mul_hi_u32 v9, v8, v7
	v_add3_u32 v7, s0, v4, -1
	v_add_u32_e32 v8, v8, v9
	v_mov_b32_e32 v9, v3
.LBB8_2:                                ; =>This Inner Loop Header: Depth=1
	v_add_u32_e32 v10, s27, v4
	v_add_u32_e32 v11, s27, v7
	v_sub_u32_e32 v14, 0, v10
	v_ashrrev_i32_e32 v13, 31, v10
	v_ashrrev_i32_e32 v15, 31, v11
	v_sub_u32_e32 v16, 0, v11
	v_max_i32_e32 v10, v10, v14
	v_xor_b32_e32 v14, s26, v15
	v_max_i32_e32 v11, v11, v16
	v_mul_hi_u32 v15, v10, v8
	v_mul_hi_u32 v16, v11, v8
	v_add_u32_e32 v9, s10, v9
	s_add_i32 s27, s27, s37
	v_mul_lo_u32 v17, v15, s11
	v_mul_lo_u32 v18, v16, s11
	v_cmp_le_i32_e32 vcc, s15, v9
	s_or_b64 s[4:5], vcc, s[4:5]
	v_sub_u32_e32 v10, v10, v17
	v_add_u32_e32 v19, 1, v15
	v_sub_u32_e32 v11, v11, v18
	v_cmp_le_u32_e32 vcc, s11, v10
	v_subrev_u32_e32 v17, s11, v10
	v_add_u32_e32 v20, 1, v16
	v_cndmask_b32_e32 v15, v15, v19, vcc
	v_cmp_le_u32_e64 s[0:1], s11, v11
	v_subrev_u32_e32 v18, s11, v11
	v_cndmask_b32_e32 v10, v10, v17, vcc
	v_cndmask_b32_e64 v16, v16, v20, s[0:1]
	v_add_u32_e32 v17, 1, v15
	v_cndmask_b32_e64 v11, v11, v18, s[0:1]
	v_cmp_le_u32_e32 vcc, s11, v10
	v_xor_b32_e32 v13, s26, v13
	v_add_u32_e32 v18, 1, v16
	v_cndmask_b32_e32 v10, v15, v17, vcc
	v_cmp_le_u32_e32 vcc, s11, v11
	v_cndmask_b32_e32 v11, v16, v18, vcc
	v_xor_b32_e32 v10, v10, v13
	v_xor_b32_e32 v11, v11, v14
	v_sub_u32_e32 v10, v10, v13
	v_add_u32_e32 v12, s35, v5
	v_sub_u32_e32 v11, v11, v14
	ds_write_b32 v5, v10
	ds_write_b32 v12, v11
	v_add_u32_e32 v5, s34, v5
	s_andn2_b64 exec, exec, s[4:5]
	s_cbranch_execnz .LBB8_2
.LBB8_3:
	s_or_b64 exec, exec, s[2:3]
	v_cmp_gt_i32_e32 vcc, s16, v3
	s_and_saveexec_b64 s[2:3], vcc
	s_cbranch_execz .LBB8_6
; %bb.4:
	s_abs_i32 s11, s16
	v_cvt_f32_u32_e32 v5, s11
	s_sub_i32 s35, 0, s11
	v_mul_lo_u32 v4, s14, v3
	s_lshl_b32 s4, s17, 3
	v_rcp_iflag_f32_e32 v5, v5
	s_lshl_b32 s5, s15, 3
	s_mul_i32 s0, s14, s33
	s_add_i32 s4, s4, s5
	v_mul_f32_e32 v5, 0x4f7ffffe, v5
	v_cvt_u32_f32_e32 v8, v5
	s_add_i32 s1, s16, s14
	s_ashr_i32 s26, s16, 31
	s_mov_b32 s27, 0
	v_mul_lo_u32 v5, s35, v8
	s_mul_i32 s35, s0, s9
	s_add_i32 s0, s4, 0
	s_lshl_b32 s34, s10, 3
	v_mul_hi_u32 v9, v8, v5
	s_mul_i32 s35, s35, s36
	v_lshl_add_u32 v5, v3, 3, s0
	v_add3_u32 v7, s1, v4, -1
	v_add_u32_e32 v8, v8, v9
	s_mov_b64 s[4:5], 0
	v_mov_b32_e32 v9, v3
.LBB8_5:                                ; =>This Inner Loop Header: Depth=1
	v_add_u32_e32 v10, s27, v7
	v_add_u32_e32 v11, s27, v4
	v_sub_u32_e32 v13, 0, v10
	v_ashrrev_i32_e32 v12, 31, v10
	v_ashrrev_i32_e32 v14, 31, v11
	v_sub_u32_e32 v15, 0, v11
	v_max_i32_e32 v10, v10, v13
	v_xor_b32_e32 v13, s26, v14
	v_max_i32_e32 v11, v11, v15
	v_mul_hi_u32 v14, v10, v8
	v_mul_hi_u32 v15, v11, v8
	v_xor_b32_e32 v12, s26, v12
	v_add_u32_e32 v9, s10, v9
	v_mul_lo_u32 v16, v14, s11
	v_mul_lo_u32 v17, v15, s11
	v_add_u32_e32 v18, 1, v14
	v_add_u32_e32 v19, 1, v15
	v_sub_u32_e32 v10, v10, v16
	v_sub_u32_e32 v11, v11, v17
	v_cmp_le_u32_e32 vcc, s11, v10
	v_subrev_u32_e32 v16, s11, v10
	v_cndmask_b32_e32 v14, v14, v18, vcc
	v_cmp_le_u32_e64 s[0:1], s11, v11
	v_subrev_u32_e32 v17, s11, v11
	v_cndmask_b32_e32 v10, v10, v16, vcc
	v_cndmask_b32_e64 v15, v15, v19, s[0:1]
	v_add_u32_e32 v16, 1, v14
	v_cndmask_b32_e64 v11, v11, v17, s[0:1]
	v_cmp_le_u32_e32 vcc, s11, v10
	v_add_u32_e32 v17, 1, v15
	v_cndmask_b32_e32 v10, v14, v16, vcc
	v_cmp_le_u32_e32 vcc, s11, v11
	v_cndmask_b32_e32 v11, v15, v17, vcc
	v_xor_b32_e32 v10, v10, v12
	v_xor_b32_e32 v11, v11, v13
	v_sub_u32_e32 v10, v10, v12
	v_sub_u32_e32 v11, v13, v11
	v_add_u32_e32 v10, v10, v11
	v_cvt_f64_i32_e32 v[10:11], v10
	s_add_i32 s27, s27, s35
	v_div_scale_f64 v[12:13], s[0:1], v[10:11], v[10:11], 1.0
	v_rcp_f64_e32 v[14:15], v[12:13]
	v_fma_f64 v[16:17], -v[12:13], v[14:15], 1.0
	v_fma_f64 v[14:15], v[14:15], v[16:17], v[14:15]
	v_div_scale_f64 v[16:17], vcc, 1.0, v[10:11], 1.0
	v_fma_f64 v[18:19], -v[12:13], v[14:15], 1.0
	v_fma_f64 v[14:15], v[14:15], v[18:19], v[14:15]
	v_mul_f64 v[18:19], v[16:17], v[14:15]
	v_fma_f64 v[12:13], -v[12:13], v[18:19], v[16:17]
	v_div_fmas_f64 v[12:13], v[12:13], v[14:15], v[18:19]
	v_cmp_le_i32_e32 vcc, s16, v9
	s_or_b64 s[4:5], vcc, s[4:5]
	v_div_fixup_f64 v[10:11], v[12:13], v[10:11], 1.0
	ds_write_b64 v5, v[10:11]
	v_add_u32_e32 v5, s34, v5
	s_andn2_b64 exec, exec, s[4:5]
	s_cbranch_execnz .LBB8_5
.LBB8_6:
	s_or_b64 exec, exec, s[2:3]
	v_cmp_gt_i32_e32 vcc, s17, v3
	s_and_saveexec_b64 s[2:3], vcc
	s_cbranch_execz .LBB8_9
; %bb.7:
	s_abs_i32 s11, s17
	v_cvt_f32_u32_e32 v4, s11
	s_sub_i32 s4, 0, s11
	s_mul_i32 s0, s15, s33
	s_lshl_b32 s35, s15, 3
	v_rcp_iflag_f32_e32 v5, v4
	v_mul_lo_u32 v4, s15, v3
	s_add_i32 s1, s17, s15
	s_mul_i32 s0, s0, s9
	v_mul_f32_e32 v5, 0x4f7ffffe, v5
	v_cvt_u32_f32_e32 v8, v5
	s_add_i32 s37, s35, 0
	s_ashr_i32 s26, s17, 31
	s_mov_b32 s27, 0
	v_mul_lo_u32 v5, s4, v8
	s_lshl_b32 s34, s10, 3
	s_mov_b64 s[4:5], 0
	s_mul_i32 s35, s0, s36
	v_mul_hi_u32 v9, v8, v5
	v_lshl_add_u32 v5, v3, 3, s37
	v_add3_u32 v7, s1, v4, -1
	v_add_u32_e32 v8, v8, v9
	v_mov_b32_e32 v9, v3
.LBB8_8:                                ; =>This Inner Loop Header: Depth=1
	v_add_u32_e32 v10, s27, v7
	v_add_u32_e32 v11, s27, v4
	v_sub_u32_e32 v13, 0, v10
	v_ashrrev_i32_e32 v12, 31, v10
	v_ashrrev_i32_e32 v14, 31, v11
	v_sub_u32_e32 v15, 0, v11
	v_max_i32_e32 v10, v10, v13
	v_xor_b32_e32 v13, s26, v14
	v_max_i32_e32 v11, v11, v15
	v_mul_hi_u32 v14, v10, v8
	v_mul_hi_u32 v15, v11, v8
	v_xor_b32_e32 v12, s26, v12
	v_add_u32_e32 v9, s10, v9
	v_mul_lo_u32 v16, v14, s11
	v_mul_lo_u32 v17, v15, s11
	v_add_u32_e32 v18, 1, v14
	v_add_u32_e32 v19, 1, v15
	v_sub_u32_e32 v10, v10, v16
	v_sub_u32_e32 v11, v11, v17
	v_cmp_le_u32_e32 vcc, s11, v10
	v_subrev_u32_e32 v16, s11, v10
	v_cndmask_b32_e32 v14, v14, v18, vcc
	v_cmp_le_u32_e64 s[0:1], s11, v11
	v_subrev_u32_e32 v17, s11, v11
	v_cndmask_b32_e32 v10, v10, v16, vcc
	v_cndmask_b32_e64 v15, v15, v19, s[0:1]
	v_add_u32_e32 v16, 1, v14
	v_cndmask_b32_e64 v11, v11, v17, s[0:1]
	v_cmp_le_u32_e32 vcc, s11, v10
	v_add_u32_e32 v17, 1, v15
	v_cndmask_b32_e32 v10, v14, v16, vcc
	v_cmp_le_u32_e32 vcc, s11, v11
	v_cndmask_b32_e32 v11, v15, v17, vcc
	v_xor_b32_e32 v10, v10, v12
	v_xor_b32_e32 v11, v11, v13
	v_sub_u32_e32 v10, v10, v12
	v_sub_u32_e32 v11, v13, v11
	v_add_u32_e32 v10, v10, v11
	v_cvt_f64_i32_e32 v[10:11], v10
	s_add_i32 s27, s27, s35
	v_div_scale_f64 v[12:13], s[0:1], v[10:11], v[10:11], 1.0
	v_rcp_f64_e32 v[14:15], v[12:13]
	v_fma_f64 v[16:17], -v[12:13], v[14:15], 1.0
	v_fma_f64 v[14:15], v[14:15], v[16:17], v[14:15]
	v_div_scale_f64 v[16:17], vcc, 1.0, v[10:11], 1.0
	v_fma_f64 v[18:19], -v[12:13], v[14:15], 1.0
	v_fma_f64 v[14:15], v[14:15], v[18:19], v[14:15]
	v_mul_f64 v[18:19], v[16:17], v[14:15]
	v_fma_f64 v[12:13], -v[12:13], v[18:19], v[16:17]
	v_div_fmas_f64 v[12:13], v[12:13], v[14:15], v[18:19]
	v_cmp_le_i32_e32 vcc, s17, v9
	s_or_b64 s[4:5], vcc, s[4:5]
	v_div_fixup_f64 v[10:11], v[12:13], v[10:11], 1.0
	ds_write_b64 v5, v[10:11]
	v_add_u32_e32 v5, s34, v5
	s_andn2_b64 exec, exec, s[4:5]
	s_cbranch_execnz .LBB8_8
.LBB8_9:
	s_or_b64 exec, exec, s[2:3]
	v_cvt_f32_u32_e32 v4, s12
	s_sub_i32 s0, 0, s12
	s_mul_i32 s5, s10, s19
	v_cmp_gt_u32_e32 vcc, s5, v3
	v_rcp_iflag_f32_e32 v4, v4
	v_mul_f32_e32 v4, 0x4f7ffffe, v4
	v_cvt_u32_f32_e32 v4, v4
	v_readfirstlane_b32 s1, v4
	s_mul_i32 s0, s0, s1
	s_mul_hi_u32 s0, s1, s0
	s_add_i32 s1, s1, s0
	s_mul_hi_u32 s4, s6, s1
	s_and_saveexec_b64 s[0:1], vcc
	s_cbranch_execz .LBB8_12
; %bb.10:
	s_lshl_b32 s2, s17, 3
	s_lshl_b32 s3, s16, 3
	s_add_i32 s2, s2, s3
	s_lshl_b32 s3, s15, 3
	s_add_i32 s2, s2, s3
	s_add_i32 s2, s2, 0
	v_mov_b32_e32 v4, 0
	v_lshl_add_u32 v7, v3, 3, s2
	s_lshl_b32 s11, s10, 3
	s_mov_b64 s[2:3], 0
	v_mov_b32_e32 v5, v4
.LBB8_11:                               ; =>This Inner Loop Header: Depth=1
	v_add_u32_e32 v3, s10, v3
	v_cmp_le_u32_e32 vcc, s5, v3
	ds_write_b64 v7, v[4:5]
	s_or_b64 s[2:3], vcc, s[2:3]
	v_add_u32_e32 v7, s11, v7
	s_andn2_b64 exec, exec, s[2:3]
	s_cbranch_execnz .LBB8_11
.LBB8_12:
	s_or_b64 exec, exec, s[0:1]
	v_cvt_f32_u32_e32 v3, s25
	s_sub_i32 s0, 0, s25
	s_add_i32 s2, s14, -1
	s_add_i32 s1, s2, s25
	v_rcp_iflag_f32_e32 v3, v3
	v_cvt_f32_u32_e32 v4, s24
	s_waitcnt lgkmcnt(0)
	s_barrier
	v_mul_f32_e32 v3, 0x4f7ffffe, v3
	v_cvt_u32_f32_e32 v3, v3
	v_rcp_iflag_f32_e32 v4, v4
	v_readfirstlane_b32 s3, v3
	s_mul_i32 s0, s0, s3
	s_mul_hi_u32 s0, s3, s0
	s_add_i32 s3, s3, s0
	s_mul_hi_u32 s0, s1, s3
	s_mul_i32 s3, s0, s25
	s_sub_i32 s1, s1, s3
	s_add_i32 s5, s0, 1
	s_sub_i32 s3, s1, s25
	s_cmp_ge_u32 s1, s25
	s_cselect_b32 s0, s5, s0
	s_cselect_b32 s1, s3, s1
	s_add_i32 s3, s0, 1
	s_cmp_ge_u32 s1, s25
	v_mul_f32_e32 v3, 0x4f7ffffe, v4
	s_cselect_b32 s1, s3, s0
	v_cvt_u32_f32_e32 v3, v3
	s_mul_i32 s3, s1, s8
	v_add_u32_e32 v5, s3, v2
	v_add_u32_e32 v2, s1, v5
	v_min_i32_e32 v7, s14, v2
	v_readfirstlane_b32 s0, v3
	v_cmp_lt_i32_e32 vcc, v5, v7
	s_and_saveexec_b64 s[10:11], vcc
	s_cbranch_execz .LBB8_30
; %bb.13:
	s_add_i32 s1, s15, s24
	s_add_i32 s3, s1, -1
	s_sub_i32 s1, 0, s24
	s_mul_i32 s1, s1, s0
	s_mul_hi_u32 s1, s0, s1
	s_add_i32 s0, s0, s1
	s_mul_hi_u32 s5, s3, s0
	s_mul_i32 s0, s4, s12
	s_sub_i32 s0, s6, s0
	s_add_i32 s1, s4, 1
	s_sub_i32 s8, s0, s12
	s_cmp_ge_u32 s0, s12
	s_cselect_b32 s1, s1, s4
	s_cselect_b32 s0, s8, s0
	s_add_i32 s4, s1, 1
	s_cmp_ge_u32 s0, s12
	s_cselect_b32 s4, s4, s1
	s_mul_i32 s0, s4, s12
	s_sub_i32 s6, s6, s0
	s_mul_i32 s0, s14, s13
	s_mul_i32 s0, s0, s15
	;; [unrolled: 1-line block ×3, first 2 shown]
	s_ashr_i32 s1, s0, 31
	s_lshl_b64 s[0:1], s[0:1], 3
	s_add_u32 s12, s28, s0
	s_mul_i32 s0, s6, s20
	s_addc_u32 s37, s29, s1
	s_ashr_i32 s1, s0, 31
	s_lshl_b64 s[0:1], s[0:1], 3
	s_add_u32 s38, s30, s0
	s_mul_i32 s0, s5, s24
	s_addc_u32 s39, s31, s1
	s_sub_i32 s0, s3, s0
	s_add_i32 s1, s5, 1
	s_sub_i32 s3, s0, s24
	s_cmp_ge_u32 s0, s24
	s_cselect_b32 s1, s1, s5
	s_cselect_b32 s0, s3, s0
	s_add_i32 s3, s1, 1
	s_cmp_ge_u32 s0, s24
	s_cselect_b32 s0, s3, s1
	s_mul_i32 s1, s0, s7
	s_abs_i32 s40, s14
	v_add_u32_e32 v8, s1, v1
	v_cvt_f32_u32_e32 v1, s40
	v_add_u32_e32 v2, s0, v8
	s_lshl_b32 s0, s15, 2
	s_add_i32 s41, s0, 0
	v_rcp_iflag_f32_e32 v1, v1
	s_add_i32 s42, s41, s0
	s_sub_i32 s0, 0, s40
	v_min_i32_e32 v9, s15, v2
	v_mul_f32_e32 v1, 0x4f7ffffe, v1
	v_cvt_u32_f32_e32 v1, v1
	v_mul_lo_u32 v3, s19, v6
	s_mul_i32 s4, s4, s9
	v_add_u32_e32 v10, s4, v0
	v_mul_lo_u32 v2, s0, v1
	s_lshl_b32 s4, s15, 3
	s_add_i32 s44, s16, s2
	v_mul_lo_u32 v11, s21, v10
	v_mul_hi_u32 v2, v1, v2
	s_lshl_b32 s2, s16, 3
	s_add_i32 s4, s4, 0
	s_lshl_b32 s3, s17, 3
	v_add_u32_e32 v6, v1, v2
	v_mul_lo_u32 v1, v3, s9
	s_add_i32 s2, s4, s2
	s_mul_i32 s43, s18, s9
	v_lshlrev_b32_e32 v0, 3, v0
	v_lshlrev_b32_e32 v1, 3, v1
	s_add_i32 s2, s2, s3
	s_add_i32 s17, s42, s3
	v_cmp_lt_i32_e32 vcc, v8, v9
	v_cmp_gt_i32_e64 s[0:1], s13, v10
	s_ashr_i32 s14, s14, 31
	s_mul_i32 s45, s43, s21
	v_add3_u32 v12, v1, v0, s2
	s_lshl_b32 s46, s9, 3
	s_mov_b64 s[8:9], 0
	v_mov_b32_e32 v0, 0
	s_branch .LBB8_15
.LBB8_14:                               ;   in Loop: Header=BB8_15 Depth=1
	s_or_b64 exec, exec, s[10:11]
	v_add_u32_e32 v5, s36, v5
	v_cmp_ge_i32_e64 s[2:3], v5, v7
	s_or_b64 s[8:9], s[2:3], s[8:9]
	s_andn2_b64 exec, exec, s[8:9]
	s_cbranch_execz .LBB8_30
.LBB8_15:                               ; =>This Loop Header: Depth=1
                                        ;     Child Loop BB8_18 Depth 2
                                        ;       Child Loop BB8_21 Depth 3
                                        ;         Child Loop BB8_24 Depth 4
                                        ;           Child Loop BB8_26 Depth 5
                                        ;       Child Loop BB8_29 Depth 3
	s_and_saveexec_b64 s[10:11], vcc
	s_cbranch_execz .LBB8_14
; %bb.16:                               ;   in Loop: Header=BB8_15 Depth=1
	v_mul_lo_u32 v1, v5, s16
	s_mov_b64 s[18:19], 0
	v_sub_u32_e32 v2, 0, v1
	v_max_i32_e32 v2, v1, v2
	v_mul_hi_u32 v3, v2, v6
	v_ashrrev_i32_e32 v4, 31, v1
	v_add_u32_e32 v1, s44, v1
	v_sub_u32_e32 v14, 0, v1
	v_mul_lo_u32 v13, v3, s40
	v_max_i32_e32 v14, v1, v14
	v_add_u32_e32 v15, 1, v3
	v_xor_b32_e32 v4, s14, v4
	v_sub_u32_e32 v2, v2, v13
	v_cmp_le_u32_e64 s[2:3], s40, v2
	v_cndmask_b32_e64 v3, v3, v15, s[2:3]
	v_mul_hi_u32 v15, v14, v6
	v_subrev_u32_e32 v13, s40, v2
	v_cndmask_b32_e64 v2, v2, v13, s[2:3]
	v_add_u32_e32 v13, 1, v3
	v_cmp_le_u32_e64 s[2:3], s40, v2
	v_cndmask_b32_e64 v2, v3, v13, s[2:3]
	v_mul_lo_u32 v3, v15, s40
	v_xor_b32_e32 v2, v2, v4
	v_sub_u32_e32 v13, v2, v4
	v_ashrrev_i32_e32 v1, 31, v1
	v_sub_u32_e32 v2, v14, v3
	v_add_u32_e32 v3, 1, v15
	v_cmp_le_u32_e64 s[2:3], s40, v2
	v_subrev_u32_e32 v4, s40, v2
	v_cndmask_b32_e64 v3, v15, v3, s[2:3]
	v_cndmask_b32_e64 v2, v2, v4, s[2:3]
	v_add_u32_e32 v4, 1, v3
	v_cmp_le_u32_e64 s[2:3], s40, v2
	v_xor_b32_e32 v1, s14, v1
	v_cndmask_b32_e64 v2, v3, v4, s[2:3]
	v_xor_b32_e32 v2, v2, v1
	v_sub_u32_e32 v14, v2, v1
	v_cmp_lt_i32_e64 s[2:3], v13, v14
	v_mov_b32_e32 v15, v8
	s_branch .LBB8_18
.LBB8_17:                               ;   in Loop: Header=BB8_18 Depth=2
	s_or_b64 exec, exec, s[20:21]
	v_add_u32_e32 v15, s33, v15
	v_cmp_ge_i32_e64 s[4:5], v15, v9
	s_or_b64 s[18:19], s[4:5], s[18:19]
	s_andn2_b64 exec, exec, s[18:19]
	s_cbranch_execz .LBB8_14
.LBB8_18:                               ;   Parent Loop BB8_15 Depth=1
                                        ; =>  This Loop Header: Depth=2
                                        ;       Child Loop BB8_21 Depth 3
                                        ;         Child Loop BB8_24 Depth 4
                                        ;           Child Loop BB8_26 Depth 5
                                        ;       Child Loop BB8_29 Depth 3
	s_and_saveexec_b64 s[20:21], s[2:3]
	s_cbranch_execz .LBB8_27
; %bb.19:                               ;   in Loop: Header=BB8_18 Depth=2
	v_lshlrev_b32_e32 v1, 2, v15
	v_add_u32_e32 v2, 0, v1
	v_add_u32_e32 v1, s41, v1
	ds_read_b32 v16, v2
	ds_read_b32 v17, v1
	s_mov_b64 s[24:25], 0
	v_mov_b32_e32 v18, v13
	s_waitcnt lgkmcnt(0)
	v_cmp_lt_i32_e64 s[4:5], v16, v17
	s_branch .LBB8_21
.LBB8_20:                               ;   in Loop: Header=BB8_21 Depth=3
	s_or_b64 exec, exec, s[26:27]
	v_add_u32_e32 v18, 1, v18
	v_cmp_ge_i32_e64 s[6:7], v18, v14
	s_or_b64 s[24:25], s[6:7], s[24:25]
	s_andn2_b64 exec, exec, s[24:25]
	s_cbranch_execz .LBB8_27
.LBB8_21:                               ;   Parent Loop BB8_15 Depth=1
                                        ;     Parent Loop BB8_18 Depth=2
                                        ; =>    This Loop Header: Depth=3
                                        ;         Child Loop BB8_24 Depth 4
                                        ;           Child Loop BB8_26 Depth 5
	s_and_saveexec_b64 s[26:27], s[4:5]
	s_cbranch_execz .LBB8_20
; %bb.22:                               ;   in Loop: Header=BB8_21 Depth=3
	v_mul_lo_u32 v1, v18, s22
	v_mov_b32_e32 v3, s39
	v_lshl_add_u32 v19, v18, 3, s17
	s_mov_b64 s[28:29], 0
	v_ashrrev_i32_e32 v2, 31, v1
	v_lshlrev_b64 v[1:2], 3, v[1:2]
	v_mov_b32_e32 v22, v16
	v_add_co_u32_e64 v20, s[6:7], s38, v1
	v_addc_co_u32_e64 v21, s[6:7], v3, v2, s[6:7]
	s_branch .LBB8_24
.LBB8_23:                               ;   in Loop: Header=BB8_24 Depth=4
	s_or_b64 exec, exec, s[30:31]
	v_add_u32_e32 v22, 1, v22
	v_cmp_ge_i32_e64 s[6:7], v22, v17
	s_or_b64 s[28:29], s[6:7], s[28:29]
	s_andn2_b64 exec, exec, s[28:29]
	s_cbranch_execz .LBB8_20
.LBB8_24:                               ;   Parent Loop BB8_15 Depth=1
                                        ;     Parent Loop BB8_18 Depth=2
                                        ;       Parent Loop BB8_21 Depth=3
                                        ; =>      This Loop Header: Depth=4
                                        ;           Child Loop BB8_26 Depth 5
	s_and_saveexec_b64 s[30:31], s[0:1]
	s_cbranch_execz .LBB8_23
; %bb.25:                               ;   in Loop: Header=BB8_24 Depth=4
	v_lshl_add_u32 v2, v22, 3, s42
	v_mul_lo_u32 v1, v22, s23
	ds_read_b64 v[3:4], v2
	ds_read_b64 v[23:24], v19
	s_mov_b64 s[34:35], 0
	v_ashrrev_i32_e32 v2, 31, v1
	v_lshlrev_b64 v[25:26], 3, v[1:2]
	s_waitcnt lgkmcnt(0)
	v_mul_f64 v[1:2], v[3:4], v[23:24]
	v_add_co_u32_e64 v23, s[6:7], v20, v25
	v_addc_co_u32_e64 v24, s[6:7], v21, v26, s[6:7]
	v_mov_b32_e32 v25, v12
	v_mov_b32_e32 v3, v11
	;; [unrolled: 1-line block ×3, first 2 shown]
.LBB8_26:                               ;   Parent Loop BB8_15 Depth=1
                                        ;     Parent Loop BB8_18 Depth=2
                                        ;       Parent Loop BB8_21 Depth=3
                                        ;         Parent Loop BB8_24 Depth=4
                                        ; =>        This Inner Loop Header: Depth=5
	v_ashrrev_i32_e32 v4, 31, v3
	v_lshlrev_b64 v[27:28], 3, v[3:4]
	ds_read_b64 v[29:30], v25
	v_add_co_u32_e64 v27, s[6:7], v23, v27
	v_addc_co_u32_e64 v28, s[6:7], v24, v28, s[6:7]
	global_load_dwordx2 v[27:28], v[27:28], off
	v_add_u32_e32 v26, s43, v26
	v_cmp_le_i32_e64 s[6:7], s13, v26
	v_add_u32_e32 v3, s45, v3
	s_or_b64 s[34:35], s[6:7], s[34:35]
	s_waitcnt vmcnt(0) lgkmcnt(0)
	v_fma_f64 v[27:28], v[1:2], v[27:28], v[29:30]
	ds_write_b64 v25, v[27:28]
	v_add_u32_e32 v25, s46, v25
	s_andn2_b64 exec, exec, s[34:35]
	s_cbranch_execnz .LBB8_26
	s_branch .LBB8_23
.LBB8_27:                               ;   in Loop: Header=BB8_18 Depth=2
	s_or_b64 exec, exec, s[20:21]
	s_and_saveexec_b64 s[20:21], s[0:1]
	s_cbranch_execz .LBB8_17
; %bb.28:                               ;   in Loop: Header=BB8_18 Depth=2
	v_mul_lo_u32 v1, v5, s15
	v_mov_b32_e32 v3, s37
	s_mov_b64 s[24:25], 0
	v_mov_b32_e32 v4, v12
	v_add_u32_e32 v1, v15, v1
	v_mul_lo_u32 v1, v1, s13
	v_ashrrev_i32_e32 v2, 31, v1
	v_lshlrev_b64 v[1:2], 3, v[1:2]
	v_add_co_u32_e64 v16, s[4:5], s12, v1
	v_addc_co_u32_e64 v17, s[4:5], v3, v2, s[4:5]
	v_mov_b32_e32 v2, v10
.LBB8_29:                               ;   Parent Loop BB8_15 Depth=1
                                        ;     Parent Loop BB8_18 Depth=2
                                        ; =>    This Inner Loop Header: Depth=3
	ds_read_b64 v[18:19], v4
	v_ashrrev_i32_e32 v3, 31, v2
	v_lshlrev_b64 v[20:21], 3, v[2:3]
	v_add_u32_e32 v2, s43, v2
	v_mov_b32_e32 v1, v0
	v_cmp_le_i32_e64 s[4:5], s13, v2
	v_add_co_u32_e64 v20, s[6:7], v16, v20
	ds_write_b64 v4, v[0:1]
	v_add_u32_e32 v4, s46, v4
	v_addc_co_u32_e64 v21, s[6:7], v17, v21, s[6:7]
	s_or_b64 s[24:25], s[4:5], s[24:25]
	s_waitcnt lgkmcnt(1)
	global_store_dwordx2 v[20:21], v[18:19], off
	s_andn2_b64 exec, exec, s[24:25]
	s_cbranch_execnz .LBB8_29
	s_branch .LBB8_17
.LBB8_30:
	s_endpgm
	.section	.rodata,"a",@progbits
	.p2align	6, 0x0
	.amdhsa_kernel _ZN2at6native12_GLOBAL__N_131adaptive_average_gradinput_nhwcIidEEvPT0_PKS3_iiiiiiiiT_S7_S7_S7_
		.amdhsa_group_segment_fixed_size 0
		.amdhsa_private_segment_fixed_size 0
		.amdhsa_kernarg_size 320
		.amdhsa_user_sgpr_count 6
		.amdhsa_user_sgpr_private_segment_buffer 1
		.amdhsa_user_sgpr_dispatch_ptr 0
		.amdhsa_user_sgpr_queue_ptr 0
		.amdhsa_user_sgpr_kernarg_segment_ptr 1
		.amdhsa_user_sgpr_dispatch_id 0
		.amdhsa_user_sgpr_flat_scratch_init 0
		.amdhsa_user_sgpr_private_segment_size 0
		.amdhsa_uses_dynamic_stack 0
		.amdhsa_system_sgpr_private_segment_wavefront_offset 0
		.amdhsa_system_sgpr_workgroup_id_x 1
		.amdhsa_system_sgpr_workgroup_id_y 1
		.amdhsa_system_sgpr_workgroup_id_z 1
		.amdhsa_system_sgpr_workgroup_info 0
		.amdhsa_system_vgpr_workitem_id 2
		.amdhsa_next_free_vgpr 31
		.amdhsa_next_free_sgpr 47
		.amdhsa_reserve_vcc 1
		.amdhsa_reserve_flat_scratch 0
		.amdhsa_float_round_mode_32 0
		.amdhsa_float_round_mode_16_64 0
		.amdhsa_float_denorm_mode_32 3
		.amdhsa_float_denorm_mode_16_64 3
		.amdhsa_dx10_clamp 1
		.amdhsa_ieee_mode 1
		.amdhsa_fp16_overflow 0
		.amdhsa_exception_fp_ieee_invalid_op 0
		.amdhsa_exception_fp_denorm_src 0
		.amdhsa_exception_fp_ieee_div_zero 0
		.amdhsa_exception_fp_ieee_overflow 0
		.amdhsa_exception_fp_ieee_underflow 0
		.amdhsa_exception_fp_ieee_inexact 0
		.amdhsa_exception_int_div_zero 0
	.end_amdhsa_kernel
	.section	.text._ZN2at6native12_GLOBAL__N_131adaptive_average_gradinput_nhwcIidEEvPT0_PKS3_iiiiiiiiT_S7_S7_S7_,"axG",@progbits,_ZN2at6native12_GLOBAL__N_131adaptive_average_gradinput_nhwcIidEEvPT0_PKS3_iiiiiiiiT_S7_S7_S7_,comdat
.Lfunc_end8:
	.size	_ZN2at6native12_GLOBAL__N_131adaptive_average_gradinput_nhwcIidEEvPT0_PKS3_iiiiiiiiT_S7_S7_S7_, .Lfunc_end8-_ZN2at6native12_GLOBAL__N_131adaptive_average_gradinput_nhwcIidEEvPT0_PKS3_iiiiiiiiT_S7_S7_S7_
                                        ; -- End function
	.set _ZN2at6native12_GLOBAL__N_131adaptive_average_gradinput_nhwcIidEEvPT0_PKS3_iiiiiiiiT_S7_S7_S7_.num_vgpr, 31
	.set _ZN2at6native12_GLOBAL__N_131adaptive_average_gradinput_nhwcIidEEvPT0_PKS3_iiiiiiiiT_S7_S7_S7_.num_agpr, 0
	.set _ZN2at6native12_GLOBAL__N_131adaptive_average_gradinput_nhwcIidEEvPT0_PKS3_iiiiiiiiT_S7_S7_S7_.numbered_sgpr, 47
	.set _ZN2at6native12_GLOBAL__N_131adaptive_average_gradinput_nhwcIidEEvPT0_PKS3_iiiiiiiiT_S7_S7_S7_.num_named_barrier, 0
	.set _ZN2at6native12_GLOBAL__N_131adaptive_average_gradinput_nhwcIidEEvPT0_PKS3_iiiiiiiiT_S7_S7_S7_.private_seg_size, 0
	.set _ZN2at6native12_GLOBAL__N_131adaptive_average_gradinput_nhwcIidEEvPT0_PKS3_iiiiiiiiT_S7_S7_S7_.uses_vcc, 1
	.set _ZN2at6native12_GLOBAL__N_131adaptive_average_gradinput_nhwcIidEEvPT0_PKS3_iiiiiiiiT_S7_S7_S7_.uses_flat_scratch, 0
	.set _ZN2at6native12_GLOBAL__N_131adaptive_average_gradinput_nhwcIidEEvPT0_PKS3_iiiiiiiiT_S7_S7_S7_.has_dyn_sized_stack, 0
	.set _ZN2at6native12_GLOBAL__N_131adaptive_average_gradinput_nhwcIidEEvPT0_PKS3_iiiiiiiiT_S7_S7_S7_.has_recursion, 0
	.set _ZN2at6native12_GLOBAL__N_131adaptive_average_gradinput_nhwcIidEEvPT0_PKS3_iiiiiiiiT_S7_S7_S7_.has_indirect_call, 0
	.section	.AMDGPU.csdata,"",@progbits
; Kernel info:
; codeLenInByte = 2796
; TotalNumSgprs: 51
; NumVgprs: 31
; ScratchSize: 0
; MemoryBound: 0
; FloatMode: 240
; IeeeMode: 1
; LDSByteSize: 0 bytes/workgroup (compile time only)
; SGPRBlocks: 6
; VGPRBlocks: 7
; NumSGPRsForWavesPerEU: 51
; NumVGPRsForWavesPerEU: 31
; Occupancy: 8
; WaveLimiterHint : 0
; COMPUTE_PGM_RSRC2:SCRATCH_EN: 0
; COMPUTE_PGM_RSRC2:USER_SGPR: 6
; COMPUTE_PGM_RSRC2:TRAP_HANDLER: 0
; COMPUTE_PGM_RSRC2:TGID_X_EN: 1
; COMPUTE_PGM_RSRC2:TGID_Y_EN: 1
; COMPUTE_PGM_RSRC2:TGID_Z_EN: 1
; COMPUTE_PGM_RSRC2:TIDIG_COMP_CNT: 2
	.section	.text._ZN2at6native12_GLOBAL__N_131adaptive_average_gradinput_nhwcIifEEvPT0_PKS3_iiiiiiiiT_S7_S7_S7_,"axG",@progbits,_ZN2at6native12_GLOBAL__N_131adaptive_average_gradinput_nhwcIifEEvPT0_PKS3_iiiiiiiiT_S7_S7_S7_,comdat
	.globl	_ZN2at6native12_GLOBAL__N_131adaptive_average_gradinput_nhwcIifEEvPT0_PKS3_iiiiiiiiT_S7_S7_S7_ ; -- Begin function _ZN2at6native12_GLOBAL__N_131adaptive_average_gradinput_nhwcIifEEvPT0_PKS3_iiiiiiiiT_S7_S7_S7_
	.p2align	8
	.type	_ZN2at6native12_GLOBAL__N_131adaptive_average_gradinput_nhwcIifEEvPT0_PKS3_iiiiiiiiT_S7_S7_S7_,@function
_ZN2at6native12_GLOBAL__N_131adaptive_average_gradinput_nhwcIifEEvPT0_PKS3_iiiiiiiiT_S7_S7_S7_: ; @_ZN2at6native12_GLOBAL__N_131adaptive_average_gradinput_nhwcIifEEvPT0_PKS3_iiiiiiiiT_S7_S7_S7_
; %bb.0:
	s_load_dwordx4 s[24:27], s[4:5], 0x44
	s_load_dwordx4 s[20:23], s[4:5], 0x30
	s_load_dwordx4 s[28:31], s[4:5], 0x0
	s_load_dwordx8 s[12:19], s[4:5], 0x10
	s_waitcnt lgkmcnt(0)
	s_lshr_b32 s33, s26, 16
	s_and_b32 s9, s26, 0xffff
	v_mad_u32_u24 v5, v2, s33, v1
	v_mad_u64_u32 v[3:4], s[0:1], v5, s9, v[0:1]
	s_and_b32 s36, s27, 0xffff
	s_mul_i32 s10, s33, s9
	s_mul_i32 s10, s10, s36
	v_cmp_gt_i32_e32 vcc, s15, v3
	s_and_saveexec_b64 s[2:3], vcc
	s_cbranch_execz .LBB9_3
; %bb.1:
	s_abs_i32 s11, s15
	v_cvt_f32_u32_e32 v4, s11
	s_sub_i32 s4, 0, s11
	s_mul_i32 s1, s17, s33
	s_add_i32 s0, s15, s17
	v_rcp_iflag_f32_e32 v6, v4
	v_mul_lo_u32 v4, s17, v3
	s_mul_i32 s37, s1, s9
	s_ashr_i32 s26, s15, 31
	v_mul_f32_e32 v6, 0x4f7ffffe, v6
	v_cvt_u32_f32_e32 v8, v6
	s_mov_b32 s27, 0
	v_lshl_add_u32 v6, v3, 2, 0
	s_lshl_b32 s34, s10, 2
	v_mul_lo_u32 v7, s4, v8
	s_lshl_b32 s35, s15, 2
	s_mov_b64 s[4:5], 0
	s_mul_i32 s37, s37, s36
	v_mul_hi_u32 v9, v8, v7
	v_add3_u32 v7, s0, v4, -1
	v_add_u32_e32 v8, v8, v9
	v_mov_b32_e32 v9, v3
.LBB9_2:                                ; =>This Inner Loop Header: Depth=1
	v_add_u32_e32 v10, s27, v4
	v_add_u32_e32 v11, s27, v7
	v_sub_u32_e32 v14, 0, v10
	v_ashrrev_i32_e32 v13, 31, v10
	v_ashrrev_i32_e32 v15, 31, v11
	v_sub_u32_e32 v16, 0, v11
	v_max_i32_e32 v10, v10, v14
	v_xor_b32_e32 v14, s26, v15
	v_max_i32_e32 v11, v11, v16
	v_mul_hi_u32 v15, v10, v8
	v_mul_hi_u32 v16, v11, v8
	v_add_u32_e32 v9, s10, v9
	s_add_i32 s27, s27, s37
	v_mul_lo_u32 v17, v15, s11
	v_mul_lo_u32 v18, v16, s11
	v_cmp_le_i32_e32 vcc, s15, v9
	s_or_b64 s[4:5], vcc, s[4:5]
	v_sub_u32_e32 v10, v10, v17
	v_add_u32_e32 v19, 1, v15
	v_sub_u32_e32 v11, v11, v18
	v_cmp_le_u32_e32 vcc, s11, v10
	v_subrev_u32_e32 v17, s11, v10
	v_add_u32_e32 v20, 1, v16
	v_cndmask_b32_e32 v15, v15, v19, vcc
	v_cmp_le_u32_e64 s[0:1], s11, v11
	v_subrev_u32_e32 v18, s11, v11
	v_cndmask_b32_e32 v10, v10, v17, vcc
	v_cndmask_b32_e64 v16, v16, v20, s[0:1]
	v_add_u32_e32 v17, 1, v15
	v_cndmask_b32_e64 v11, v11, v18, s[0:1]
	v_cmp_le_u32_e32 vcc, s11, v10
	v_xor_b32_e32 v13, s26, v13
	v_add_u32_e32 v18, 1, v16
	v_cndmask_b32_e32 v10, v15, v17, vcc
	v_cmp_le_u32_e32 vcc, s11, v11
	v_cndmask_b32_e32 v11, v16, v18, vcc
	v_xor_b32_e32 v10, v10, v13
	v_xor_b32_e32 v11, v11, v14
	v_sub_u32_e32 v10, v10, v13
	v_add_u32_e32 v12, s35, v6
	v_sub_u32_e32 v11, v11, v14
	ds_write_b32 v6, v10
	ds_write_b32 v12, v11
	v_add_u32_e32 v6, s34, v6
	s_andn2_b64 exec, exec, s[4:5]
	s_cbranch_execnz .LBB9_2
.LBB9_3:
	s_or_b64 exec, exec, s[2:3]
	v_cmp_gt_i32_e32 vcc, s16, v3
	s_and_saveexec_b64 s[2:3], vcc
	s_cbranch_execz .LBB9_6
; %bb.4:
	s_abs_i32 s11, s16
	v_cvt_f32_u32_e32 v6, s11
	s_sub_i32 s35, 0, s11
	v_mul_lo_u32 v4, s14, v3
	s_lshl_b32 s4, s15, 3
	v_rcp_iflag_f32_e32 v6, v6
	s_lshl_b32 s5, s17, 2
	s_mul_i32 s0, s14, s33
	s_add_i32 s4, s4, s5
	v_mul_f32_e32 v6, 0x4f7ffffe, v6
	v_cvt_u32_f32_e32 v8, v6
	s_add_i32 s1, s16, s14
	s_ashr_i32 s26, s16, 31
	s_mov_b32 s27, 0
	v_mul_lo_u32 v6, s35, v8
	s_mul_i32 s35, s0, s9
	s_add_i32 s0, s4, 0
	s_lshl_b32 s34, s10, 2
	v_mul_hi_u32 v9, v8, v6
	s_mul_i32 s35, s35, s36
	v_lshl_add_u32 v6, v3, 2, s0
	v_add3_u32 v7, s1, v4, -1
	v_add_u32_e32 v8, v8, v9
	s_mov_b64 s[4:5], 0
	v_mov_b32_e32 v9, v3
.LBB9_5:                                ; =>This Inner Loop Header: Depth=1
	v_add_u32_e32 v10, s27, v7
	v_add_u32_e32 v11, s27, v4
	v_sub_u32_e32 v13, 0, v10
	v_ashrrev_i32_e32 v12, 31, v10
	v_ashrrev_i32_e32 v14, 31, v11
	v_sub_u32_e32 v15, 0, v11
	v_max_i32_e32 v10, v10, v13
	v_xor_b32_e32 v13, s26, v14
	v_max_i32_e32 v11, v11, v15
	v_mul_hi_u32 v14, v10, v8
	v_mul_hi_u32 v15, v11, v8
	v_xor_b32_e32 v12, s26, v12
	v_add_u32_e32 v9, s10, v9
	v_mul_lo_u32 v16, v14, s11
	v_mul_lo_u32 v17, v15, s11
	v_add_u32_e32 v18, 1, v14
	v_add_u32_e32 v19, 1, v15
	v_sub_u32_e32 v10, v10, v16
	v_sub_u32_e32 v11, v11, v17
	v_cmp_le_u32_e32 vcc, s11, v10
	v_subrev_u32_e32 v16, s11, v10
	v_cndmask_b32_e32 v14, v14, v18, vcc
	v_cmp_le_u32_e64 s[0:1], s11, v11
	v_subrev_u32_e32 v17, s11, v11
	v_cndmask_b32_e32 v10, v10, v16, vcc
	v_cndmask_b32_e64 v15, v15, v19, s[0:1]
	v_add_u32_e32 v16, 1, v14
	v_cndmask_b32_e64 v11, v11, v17, s[0:1]
	v_cmp_le_u32_e32 vcc, s11, v10
	v_add_u32_e32 v17, 1, v15
	v_cndmask_b32_e32 v10, v14, v16, vcc
	v_cmp_le_u32_e32 vcc, s11, v11
	v_cndmask_b32_e32 v11, v15, v17, vcc
	v_xor_b32_e32 v10, v10, v12
	v_xor_b32_e32 v11, v11, v13
	v_sub_u32_e32 v10, v10, v12
	v_sub_u32_e32 v11, v13, v11
	v_add_u32_e32 v10, v10, v11
	v_cvt_f32_i32_e32 v10, v10
	s_add_i32 s27, s27, s35
	v_div_scale_f32 v11, s[0:1], v10, v10, 1.0
	v_div_scale_f32 v12, vcc, 1.0, v10, 1.0
	v_rcp_f32_e32 v13, v11
	v_fma_f32 v14, -v11, v13, 1.0
	v_fmac_f32_e32 v13, v14, v13
	v_mul_f32_e32 v14, v12, v13
	v_fma_f32 v15, -v11, v14, v12
	v_fmac_f32_e32 v14, v15, v13
	v_fma_f32 v11, -v11, v14, v12
	v_div_fmas_f32 v11, v11, v13, v14
	v_cmp_le_i32_e32 vcc, s16, v9
	s_or_b64 s[4:5], vcc, s[4:5]
	v_div_fixup_f32 v10, v11, v10, 1.0
	ds_write_b32 v6, v10
	v_add_u32_e32 v6, s34, v6
	s_andn2_b64 exec, exec, s[4:5]
	s_cbranch_execnz .LBB9_5
.LBB9_6:
	s_or_b64 exec, exec, s[2:3]
	v_cmp_gt_i32_e32 vcc, s17, v3
	s_and_saveexec_b64 s[2:3], vcc
	s_cbranch_execz .LBB9_9
; %bb.7:
	s_abs_i32 s11, s17
	v_cvt_f32_u32_e32 v4, s11
	s_sub_i32 s4, 0, s11
	s_mul_i32 s0, s15, s33
	s_lshl_b32 s35, s15, 3
	v_rcp_iflag_f32_e32 v6, v4
	v_mul_lo_u32 v4, s15, v3
	s_add_i32 s1, s17, s15
	s_mul_i32 s0, s0, s9
	v_mul_f32_e32 v6, 0x4f7ffffe, v6
	v_cvt_u32_f32_e32 v8, v6
	s_add_i32 s37, s35, 0
	s_ashr_i32 s26, s17, 31
	s_mov_b32 s27, 0
	v_mul_lo_u32 v6, s4, v8
	s_lshl_b32 s34, s10, 2
	s_mov_b64 s[4:5], 0
	s_mul_i32 s35, s0, s36
	v_mul_hi_u32 v9, v8, v6
	v_lshl_add_u32 v6, v3, 2, s37
	v_add3_u32 v7, s1, v4, -1
	v_add_u32_e32 v8, v8, v9
	v_mov_b32_e32 v9, v3
.LBB9_8:                                ; =>This Inner Loop Header: Depth=1
	v_add_u32_e32 v10, s27, v7
	v_add_u32_e32 v11, s27, v4
	v_sub_u32_e32 v13, 0, v10
	v_ashrrev_i32_e32 v12, 31, v10
	v_ashrrev_i32_e32 v14, 31, v11
	v_sub_u32_e32 v15, 0, v11
	v_max_i32_e32 v10, v10, v13
	v_xor_b32_e32 v13, s26, v14
	v_max_i32_e32 v11, v11, v15
	v_mul_hi_u32 v14, v10, v8
	v_mul_hi_u32 v15, v11, v8
	v_xor_b32_e32 v12, s26, v12
	v_add_u32_e32 v9, s10, v9
	v_mul_lo_u32 v16, v14, s11
	v_mul_lo_u32 v17, v15, s11
	v_add_u32_e32 v18, 1, v14
	v_add_u32_e32 v19, 1, v15
	v_sub_u32_e32 v10, v10, v16
	v_sub_u32_e32 v11, v11, v17
	v_cmp_le_u32_e32 vcc, s11, v10
	v_subrev_u32_e32 v16, s11, v10
	v_cndmask_b32_e32 v14, v14, v18, vcc
	v_cmp_le_u32_e64 s[0:1], s11, v11
	v_subrev_u32_e32 v17, s11, v11
	v_cndmask_b32_e32 v10, v10, v16, vcc
	v_cndmask_b32_e64 v15, v15, v19, s[0:1]
	v_add_u32_e32 v16, 1, v14
	v_cndmask_b32_e64 v11, v11, v17, s[0:1]
	v_cmp_le_u32_e32 vcc, s11, v10
	v_add_u32_e32 v17, 1, v15
	v_cndmask_b32_e32 v10, v14, v16, vcc
	v_cmp_le_u32_e32 vcc, s11, v11
	v_cndmask_b32_e32 v11, v15, v17, vcc
	v_xor_b32_e32 v10, v10, v12
	v_xor_b32_e32 v11, v11, v13
	v_sub_u32_e32 v10, v10, v12
	v_sub_u32_e32 v11, v13, v11
	v_add_u32_e32 v10, v10, v11
	v_cvt_f32_i32_e32 v10, v10
	s_add_i32 s27, s27, s35
	v_div_scale_f32 v11, s[0:1], v10, v10, 1.0
	v_div_scale_f32 v12, vcc, 1.0, v10, 1.0
	v_rcp_f32_e32 v13, v11
	v_fma_f32 v14, -v11, v13, 1.0
	v_fmac_f32_e32 v13, v14, v13
	v_mul_f32_e32 v14, v12, v13
	v_fma_f32 v15, -v11, v14, v12
	v_fmac_f32_e32 v14, v15, v13
	v_fma_f32 v11, -v11, v14, v12
	v_div_fmas_f32 v11, v11, v13, v14
	v_cmp_le_i32_e32 vcc, s17, v9
	s_or_b64 s[4:5], vcc, s[4:5]
	v_div_fixup_f32 v10, v11, v10, 1.0
	ds_write_b32 v6, v10
	v_add_u32_e32 v6, s34, v6
	s_andn2_b64 exec, exec, s[4:5]
	s_cbranch_execnz .LBB9_8
.LBB9_9:
	s_or_b64 exec, exec, s[2:3]
	v_cvt_f32_u32_e32 v4, s12
	s_sub_i32 s0, 0, s12
	s_mul_i32 s5, s10, s19
	v_cmp_gt_u32_e32 vcc, s5, v3
	v_rcp_iflag_f32_e32 v4, v4
	v_mul_f32_e32 v4, 0x4f7ffffe, v4
	v_cvt_u32_f32_e32 v4, v4
	v_readfirstlane_b32 s1, v4
	s_mul_i32 s0, s0, s1
	s_mul_hi_u32 s0, s1, s0
	s_add_i32 s1, s1, s0
	s_mul_hi_u32 s4, s6, s1
	s_and_saveexec_b64 s[0:1], vcc
	s_cbranch_execz .LBB9_12
; %bb.10:
	s_lshl_b32 s2, s15, 3
	s_lshl_b32 s3, s17, 2
	s_add_i32 s2, s2, s3
	s_lshl_b32 s3, s16, 2
	s_add_i32 s2, s2, s3
	s_add_i32 s2, s2, 0
	v_lshl_add_u32 v4, v3, 2, s2
	s_lshl_b32 s11, s10, 2
	s_mov_b64 s[2:3], 0
	v_mov_b32_e32 v6, 0
.LBB9_11:                               ; =>This Inner Loop Header: Depth=1
	v_add_u32_e32 v3, s10, v3
	v_cmp_le_u32_e32 vcc, s5, v3
	ds_write_b32 v4, v6
	s_or_b64 s[2:3], vcc, s[2:3]
	v_add_u32_e32 v4, s11, v4
	s_andn2_b64 exec, exec, s[2:3]
	s_cbranch_execnz .LBB9_11
.LBB9_12:
	s_or_b64 exec, exec, s[0:1]
	v_cvt_f32_u32_e32 v3, s25
	s_sub_i32 s0, 0, s25
	s_add_i32 s2, s14, -1
	v_cvt_f32_u32_e32 v4, s24
	v_rcp_iflag_f32_e32 v3, v3
	s_add_i32 s1, s2, s25
	s_waitcnt lgkmcnt(0)
	v_rcp_iflag_f32_e32 v4, v4
	v_mul_f32_e32 v3, 0x4f7ffffe, v3
	v_cvt_u32_f32_e32 v3, v3
	s_barrier
	v_readfirstlane_b32 s3, v3
	s_mul_i32 s0, s0, s3
	s_mul_hi_u32 s0, s3, s0
	s_add_i32 s3, s3, s0
	s_mul_hi_u32 s0, s1, s3
	s_mul_i32 s3, s0, s25
	s_sub_i32 s1, s1, s3
	s_add_i32 s5, s0, 1
	s_sub_i32 s3, s1, s25
	s_cmp_ge_u32 s1, s25
	s_cselect_b32 s0, s5, s0
	s_cselect_b32 s1, s3, s1
	v_mul_f32_e32 v3, 0x4f7ffffe, v4
	s_add_i32 s3, s0, 1
	v_cvt_u32_f32_e32 v3, v3
	s_cmp_ge_u32 s1, s25
	s_cselect_b32 s1, s3, s0
	s_mul_i32 s3, s1, s8
	v_add_u32_e32 v2, s3, v2
	v_readfirstlane_b32 s0, v3
	v_add_u32_e32 v3, s1, v2
	v_min_i32_e32 v3, s14, v3
	v_cmp_lt_i32_e32 vcc, v2, v3
	s_and_saveexec_b64 s[10:11], vcc
	s_cbranch_execz .LBB9_30
; %bb.13:
	s_add_i32 s1, s15, s24
	s_add_i32 s3, s1, -1
	s_sub_i32 s1, 0, s24
	s_mul_i32 s1, s1, s0
	s_mul_hi_u32 s1, s0, s1
	s_add_i32 s0, s0, s1
	s_mul_hi_u32 s5, s3, s0
	s_mul_i32 s0, s4, s12
	s_sub_i32 s0, s6, s0
	s_add_i32 s1, s4, 1
	s_sub_i32 s8, s0, s12
	s_cmp_ge_u32 s0, s12
	s_cselect_b32 s1, s1, s4
	s_cselect_b32 s0, s8, s0
	s_add_i32 s4, s1, 1
	s_cmp_ge_u32 s0, s12
	s_cselect_b32 s4, s4, s1
	s_mul_i32 s0, s4, s12
	s_sub_i32 s6, s6, s0
	s_mul_i32 s0, s14, s13
	s_mul_i32 s0, s0, s15
	;; [unrolled: 1-line block ×3, first 2 shown]
	s_ashr_i32 s1, s0, 31
	s_lshl_b64 s[0:1], s[0:1], 2
	s_add_u32 s12, s28, s0
	s_mul_i32 s0, s6, s20
	s_addc_u32 s37, s29, s1
	s_ashr_i32 s1, s0, 31
	s_lshl_b64 s[0:1], s[0:1], 2
	s_add_u32 s38, s30, s0
	s_mul_i32 s0, s5, s24
	s_addc_u32 s39, s31, s1
	s_sub_i32 s0, s3, s0
	s_add_i32 s1, s5, 1
	s_sub_i32 s3, s0, s24
	s_cmp_ge_u32 s0, s24
	s_cselect_b32 s1, s1, s5
	s_cselect_b32 s0, s3, s0
	s_add_i32 s3, s1, 1
	s_cmp_ge_u32 s0, s24
	s_cselect_b32 s0, s3, s1
	s_mul_i32 s1, s0, s7
	s_abs_i32 s40, s14
	v_add_u32_e32 v4, s1, v1
	v_cvt_f32_u32_e32 v1, s40
	v_add_u32_e32 v6, s0, v4
	s_lshl_b32 s0, s15, 2
	s_add_i32 s41, s0, 0
	v_rcp_iflag_f32_e32 v1, v1
	s_add_i32 s42, s41, s0
	s_sub_i32 s0, 0, s40
	v_mul_lo_u32 v9, s19, v5
	v_mul_f32_e32 v1, 0x4f7ffffe, v1
	v_cvt_u32_f32_e32 v1, v1
	s_mul_i32 s4, s4, s9
	v_add_u32_e32 v7, s4, v0
	s_add_i32 s44, s16, s2
	v_mul_lo_u32 v8, s0, v1
	s_lshl_b32 s2, s15, 3
	s_lshl_b32 s3, s17, 2
	v_min_i32_e32 v6, s15, v6
	v_mul_hi_u32 v8, v1, v8
	s_mul_i32 s43, s18, s9
	v_lshlrev_b32_e32 v0, 2, v0
	s_add_i32 s17, s42, s3
	v_add_u32_e32 v5, v1, v8
	v_mul_lo_u32 v1, v9, s9
	v_mul_lo_u32 v8, s21, v7
	v_cmp_lt_i32_e32 vcc, v4, v6
	v_cmp_gt_i32_e64 s[0:1], s13, v7
	v_lshl_add_u32 v1, v1, 2, s2
	s_lshl_b32 s2, s16, 2
	s_add_i32 s2, s2, 0
	s_add_i32 s2, s2, s3
	s_ashr_i32 s14, s14, 31
	s_mul_i32 s45, s43, s21
	v_add3_u32 v9, v1, v0, s2
	s_lshl_b32 s46, s9, 2
	s_mov_b64 s[8:9], 0
	s_branch .LBB9_15
.LBB9_14:                               ;   in Loop: Header=BB9_15 Depth=1
	s_or_b64 exec, exec, s[10:11]
	v_add_u32_e32 v2, s36, v2
	v_cmp_ge_i32_e64 s[2:3], v2, v3
	s_or_b64 s[8:9], s[2:3], s[8:9]
	s_andn2_b64 exec, exec, s[8:9]
	s_cbranch_execz .LBB9_30
.LBB9_15:                               ; =>This Loop Header: Depth=1
                                        ;     Child Loop BB9_18 Depth 2
                                        ;       Child Loop BB9_21 Depth 3
                                        ;         Child Loop BB9_24 Depth 4
                                        ;           Child Loop BB9_26 Depth 5
                                        ;       Child Loop BB9_29 Depth 3
	s_and_saveexec_b64 s[10:11], vcc
	s_cbranch_execz .LBB9_14
; %bb.16:                               ;   in Loop: Header=BB9_15 Depth=1
	v_mul_lo_u32 v0, v2, s16
	s_mov_b64 s[18:19], 0
	v_sub_u32_e32 v1, 0, v0
	v_max_i32_e32 v1, v0, v1
	v_mul_hi_u32 v10, v1, v5
	v_ashrrev_i32_e32 v11, 31, v0
	v_add_u32_e32 v0, s44, v0
	v_sub_u32_e32 v13, 0, v0
	v_mul_lo_u32 v12, v10, s40
	v_max_i32_e32 v13, v0, v13
	v_add_u32_e32 v14, 1, v10
	v_xor_b32_e32 v11, s14, v11
	v_sub_u32_e32 v1, v1, v12
	v_cmp_le_u32_e64 s[2:3], s40, v1
	v_cndmask_b32_e64 v10, v10, v14, s[2:3]
	v_mul_hi_u32 v14, v13, v5
	v_subrev_u32_e32 v12, s40, v1
	v_cndmask_b32_e64 v1, v1, v12, s[2:3]
	v_add_u32_e32 v12, 1, v10
	v_cmp_le_u32_e64 s[2:3], s40, v1
	v_cndmask_b32_e64 v1, v10, v12, s[2:3]
	v_mul_lo_u32 v12, v14, s40
	v_xor_b32_e32 v1, v1, v11
	v_sub_u32_e32 v10, v1, v11
	v_add_u32_e32 v11, 1, v14
	v_sub_u32_e32 v1, v13, v12
	v_cmp_le_u32_e64 s[2:3], s40, v1
	v_subrev_u32_e32 v12, s40, v1
	v_cndmask_b32_e64 v11, v14, v11, s[2:3]
	v_cndmask_b32_e64 v1, v1, v12, s[2:3]
	v_ashrrev_i32_e32 v0, 31, v0
	v_add_u32_e32 v12, 1, v11
	v_cmp_le_u32_e64 s[2:3], s40, v1
	v_xor_b32_e32 v0, s14, v0
	v_cndmask_b32_e64 v1, v11, v12, s[2:3]
	v_mul_lo_u32 v12, v2, s15
	v_xor_b32_e32 v1, v1, v0
	v_sub_u32_e32 v11, v1, v0
	v_cmp_lt_i32_e64 s[2:3], v10, v11
	v_mov_b32_e32 v13, v4
	s_branch .LBB9_18
.LBB9_17:                               ;   in Loop: Header=BB9_18 Depth=2
	s_or_b64 exec, exec, s[20:21]
	v_add_u32_e32 v13, s33, v13
	v_cmp_ge_i32_e64 s[4:5], v13, v6
	s_or_b64 s[18:19], s[4:5], s[18:19]
	s_andn2_b64 exec, exec, s[18:19]
	s_cbranch_execz .LBB9_14
.LBB9_18:                               ;   Parent Loop BB9_15 Depth=1
                                        ; =>  This Loop Header: Depth=2
                                        ;       Child Loop BB9_21 Depth 3
                                        ;         Child Loop BB9_24 Depth 4
                                        ;           Child Loop BB9_26 Depth 5
                                        ;       Child Loop BB9_29 Depth 3
	s_and_saveexec_b64 s[20:21], s[2:3]
	s_cbranch_execz .LBB9_27
; %bb.19:                               ;   in Loop: Header=BB9_18 Depth=2
	v_lshlrev_b32_e32 v0, 2, v13
	v_add_u32_e32 v1, 0, v0
	v_add_u32_e32 v0, s41, v0
	ds_read_b32 v14, v1
	ds_read_b32 v15, v0
	s_mov_b64 s[24:25], 0
	v_mov_b32_e32 v16, v10
	s_waitcnt lgkmcnt(0)
	v_cmp_lt_i32_e64 s[4:5], v14, v15
	s_branch .LBB9_21
.LBB9_20:                               ;   in Loop: Header=BB9_21 Depth=3
	s_or_b64 exec, exec, s[26:27]
	v_add_u32_e32 v16, 1, v16
	v_cmp_ge_i32_e64 s[6:7], v16, v11
	s_or_b64 s[24:25], s[6:7], s[24:25]
	s_andn2_b64 exec, exec, s[24:25]
	s_cbranch_execz .LBB9_27
.LBB9_21:                               ;   Parent Loop BB9_15 Depth=1
                                        ;     Parent Loop BB9_18 Depth=2
                                        ; =>    This Loop Header: Depth=3
                                        ;         Child Loop BB9_24 Depth 4
                                        ;           Child Loop BB9_26 Depth 5
	s_and_saveexec_b64 s[26:27], s[4:5]
	s_cbranch_execz .LBB9_20
; %bb.22:                               ;   in Loop: Header=BB9_21 Depth=3
	v_mul_lo_u32 v0, v16, s22
	v_mov_b32_e32 v19, s39
	v_lshl_add_u32 v17, v16, 2, s17
	s_mov_b64 s[28:29], 0
	v_ashrrev_i32_e32 v1, 31, v0
	v_lshlrev_b64 v[0:1], 2, v[0:1]
	v_mov_b32_e32 v20, v14
	v_add_co_u32_e64 v18, s[6:7], s38, v0
	v_addc_co_u32_e64 v19, s[6:7], v19, v1, s[6:7]
	s_branch .LBB9_24
.LBB9_23:                               ;   in Loop: Header=BB9_24 Depth=4
	s_or_b64 exec, exec, s[30:31]
	v_add_u32_e32 v20, 1, v20
	v_cmp_ge_i32_e64 s[6:7], v20, v15
	s_or_b64 s[28:29], s[6:7], s[28:29]
	s_andn2_b64 exec, exec, s[28:29]
	s_cbranch_execz .LBB9_20
.LBB9_24:                               ;   Parent Loop BB9_15 Depth=1
                                        ;     Parent Loop BB9_18 Depth=2
                                        ;       Parent Loop BB9_21 Depth=3
                                        ; =>      This Loop Header: Depth=4
                                        ;           Child Loop BB9_26 Depth 5
	s_and_saveexec_b64 s[30:31], s[0:1]
	s_cbranch_execz .LBB9_23
; %bb.25:                               ;   in Loop: Header=BB9_24 Depth=4
	v_mul_lo_u32 v0, v20, s23
	v_lshl_add_u32 v1, v20, 2, s42
	ds_read_b32 v21, v1
	ds_read_b32 v22, v17
	s_mov_b64 s[34:35], 0
	v_ashrrev_i32_e32 v1, 31, v0
	v_lshlrev_b64 v[0:1], 2, v[0:1]
	v_mov_b32_e32 v24, v9
	s_waitcnt lgkmcnt(0)
	v_mul_f32_e32 v21, v21, v22
	v_add_co_u32_e64 v22, s[6:7], v18, v0
	v_addc_co_u32_e64 v23, s[6:7], v19, v1, s[6:7]
	v_mov_b32_e32 v0, v8
	v_mov_b32_e32 v25, v7
.LBB9_26:                               ;   Parent Loop BB9_15 Depth=1
                                        ;     Parent Loop BB9_18 Depth=2
                                        ;       Parent Loop BB9_21 Depth=3
                                        ;         Parent Loop BB9_24 Depth=4
                                        ; =>        This Inner Loop Header: Depth=5
	v_ashrrev_i32_e32 v1, 31, v0
	v_lshlrev_b64 v[26:27], 2, v[0:1]
	v_add_u32_e32 v25, s43, v25
	v_add_co_u32_e64 v26, s[6:7], v22, v26
	v_addc_co_u32_e64 v27, s[6:7], v23, v27, s[6:7]
	global_load_dword v1, v[26:27], off
	ds_read_b32 v26, v24
	v_cmp_le_i32_e64 s[6:7], s13, v25
	v_add_u32_e32 v0, s45, v0
	s_or_b64 s[34:35], s[6:7], s[34:35]
	s_waitcnt vmcnt(0) lgkmcnt(0)
	v_fmac_f32_e32 v26, v21, v1
	ds_write_b32 v24, v26
	v_add_u32_e32 v24, s46, v24
	s_andn2_b64 exec, exec, s[34:35]
	s_cbranch_execnz .LBB9_26
	s_branch .LBB9_23
.LBB9_27:                               ;   in Loop: Header=BB9_18 Depth=2
	s_or_b64 exec, exec, s[20:21]
	s_and_saveexec_b64 s[20:21], s[0:1]
	s_cbranch_execz .LBB9_17
; %bb.28:                               ;   in Loop: Header=BB9_18 Depth=2
	v_add_u32_e32 v0, v13, v12
	v_mul_lo_u32 v0, v0, s13
	v_mov_b32_e32 v15, s37
	s_mov_b64 s[24:25], 0
	v_mov_b32_e32 v16, v9
	v_ashrrev_i32_e32 v1, 31, v0
	v_lshlrev_b64 v[0:1], 2, v[0:1]
	v_add_co_u32_e64 v14, s[4:5], s12, v0
	v_addc_co_u32_e64 v15, s[4:5], v15, v1, s[4:5]
	v_mov_b32_e32 v0, v7
.LBB9_29:                               ;   Parent Loop BB9_15 Depth=1
                                        ;     Parent Loop BB9_18 Depth=2
                                        ; =>    This Inner Loop Header: Depth=3
	ds_read_b32 v19, v16
	v_ashrrev_i32_e32 v1, 31, v0
	v_mov_b32_e32 v17, 0
	ds_write_b32 v16, v17
	v_lshlrev_b64 v[17:18], 2, v[0:1]
	v_add_u32_e32 v0, s43, v0
	v_cmp_le_i32_e64 s[4:5], s13, v0
	v_add_co_u32_e64 v17, s[6:7], v14, v17
	v_add_u32_e32 v16, s46, v16
	v_addc_co_u32_e64 v18, s[6:7], v15, v18, s[6:7]
	s_or_b64 s[24:25], s[4:5], s[24:25]
	s_waitcnt lgkmcnt(1)
	global_store_dword v[17:18], v19, off
	s_andn2_b64 exec, exec, s[24:25]
	s_cbranch_execnz .LBB9_29
	s_branch .LBB9_17
.LBB9_30:
	s_endpgm
	.section	.rodata,"a",@progbits
	.p2align	6, 0x0
	.amdhsa_kernel _ZN2at6native12_GLOBAL__N_131adaptive_average_gradinput_nhwcIifEEvPT0_PKS3_iiiiiiiiT_S7_S7_S7_
		.amdhsa_group_segment_fixed_size 0
		.amdhsa_private_segment_fixed_size 0
		.amdhsa_kernarg_size 320
		.amdhsa_user_sgpr_count 6
		.amdhsa_user_sgpr_private_segment_buffer 1
		.amdhsa_user_sgpr_dispatch_ptr 0
		.amdhsa_user_sgpr_queue_ptr 0
		.amdhsa_user_sgpr_kernarg_segment_ptr 1
		.amdhsa_user_sgpr_dispatch_id 0
		.amdhsa_user_sgpr_flat_scratch_init 0
		.amdhsa_user_sgpr_private_segment_size 0
		.amdhsa_uses_dynamic_stack 0
		.amdhsa_system_sgpr_private_segment_wavefront_offset 0
		.amdhsa_system_sgpr_workgroup_id_x 1
		.amdhsa_system_sgpr_workgroup_id_y 1
		.amdhsa_system_sgpr_workgroup_id_z 1
		.amdhsa_system_sgpr_workgroup_info 0
		.amdhsa_system_vgpr_workitem_id 2
		.amdhsa_next_free_vgpr 28
		.amdhsa_next_free_sgpr 47
		.amdhsa_reserve_vcc 1
		.amdhsa_reserve_flat_scratch 0
		.amdhsa_float_round_mode_32 0
		.amdhsa_float_round_mode_16_64 0
		.amdhsa_float_denorm_mode_32 3
		.amdhsa_float_denorm_mode_16_64 3
		.amdhsa_dx10_clamp 1
		.amdhsa_ieee_mode 1
		.amdhsa_fp16_overflow 0
		.amdhsa_exception_fp_ieee_invalid_op 0
		.amdhsa_exception_fp_denorm_src 0
		.amdhsa_exception_fp_ieee_div_zero 0
		.amdhsa_exception_fp_ieee_overflow 0
		.amdhsa_exception_fp_ieee_underflow 0
		.amdhsa_exception_fp_ieee_inexact 0
		.amdhsa_exception_int_div_zero 0
	.end_amdhsa_kernel
	.section	.text._ZN2at6native12_GLOBAL__N_131adaptive_average_gradinput_nhwcIifEEvPT0_PKS3_iiiiiiiiT_S7_S7_S7_,"axG",@progbits,_ZN2at6native12_GLOBAL__N_131adaptive_average_gradinput_nhwcIifEEvPT0_PKS3_iiiiiiiiT_S7_S7_S7_,comdat
.Lfunc_end9:
	.size	_ZN2at6native12_GLOBAL__N_131adaptive_average_gradinput_nhwcIifEEvPT0_PKS3_iiiiiiiiT_S7_S7_S7_, .Lfunc_end9-_ZN2at6native12_GLOBAL__N_131adaptive_average_gradinput_nhwcIifEEvPT0_PKS3_iiiiiiiiT_S7_S7_S7_
                                        ; -- End function
	.set _ZN2at6native12_GLOBAL__N_131adaptive_average_gradinput_nhwcIifEEvPT0_PKS3_iiiiiiiiT_S7_S7_S7_.num_vgpr, 28
	.set _ZN2at6native12_GLOBAL__N_131adaptive_average_gradinput_nhwcIifEEvPT0_PKS3_iiiiiiiiT_S7_S7_S7_.num_agpr, 0
	.set _ZN2at6native12_GLOBAL__N_131adaptive_average_gradinput_nhwcIifEEvPT0_PKS3_iiiiiiiiT_S7_S7_S7_.numbered_sgpr, 47
	.set _ZN2at6native12_GLOBAL__N_131adaptive_average_gradinput_nhwcIifEEvPT0_PKS3_iiiiiiiiT_S7_S7_S7_.num_named_barrier, 0
	.set _ZN2at6native12_GLOBAL__N_131adaptive_average_gradinput_nhwcIifEEvPT0_PKS3_iiiiiiiiT_S7_S7_S7_.private_seg_size, 0
	.set _ZN2at6native12_GLOBAL__N_131adaptive_average_gradinput_nhwcIifEEvPT0_PKS3_iiiiiiiiT_S7_S7_S7_.uses_vcc, 1
	.set _ZN2at6native12_GLOBAL__N_131adaptive_average_gradinput_nhwcIifEEvPT0_PKS3_iiiiiiiiT_S7_S7_S7_.uses_flat_scratch, 0
	.set _ZN2at6native12_GLOBAL__N_131adaptive_average_gradinput_nhwcIifEEvPT0_PKS3_iiiiiiiiT_S7_S7_S7_.has_dyn_sized_stack, 0
	.set _ZN2at6native12_GLOBAL__N_131adaptive_average_gradinput_nhwcIifEEvPT0_PKS3_iiiiiiiiT_S7_S7_S7_.has_recursion, 0
	.set _ZN2at6native12_GLOBAL__N_131adaptive_average_gradinput_nhwcIifEEvPT0_PKS3_iiiiiiiiT_S7_S7_S7_.has_indirect_call, 0
	.section	.AMDGPU.csdata,"",@progbits
; Kernel info:
; codeLenInByte = 2756
; TotalNumSgprs: 51
; NumVgprs: 28
; ScratchSize: 0
; MemoryBound: 0
; FloatMode: 240
; IeeeMode: 1
; LDSByteSize: 0 bytes/workgroup (compile time only)
; SGPRBlocks: 6
; VGPRBlocks: 6
; NumSGPRsForWavesPerEU: 51
; NumVGPRsForWavesPerEU: 28
; Occupancy: 9
; WaveLimiterHint : 0
; COMPUTE_PGM_RSRC2:SCRATCH_EN: 0
; COMPUTE_PGM_RSRC2:USER_SGPR: 6
; COMPUTE_PGM_RSRC2:TRAP_HANDLER: 0
; COMPUTE_PGM_RSRC2:TGID_X_EN: 1
; COMPUTE_PGM_RSRC2:TGID_Y_EN: 1
; COMPUTE_PGM_RSRC2:TGID_Z_EN: 1
; COMPUTE_PGM_RSRC2:TIDIG_COMP_CNT: 2
	.section	.text._ZN2at6native12_GLOBAL__N_131adaptive_average_gradinput_nhwcIiN3c104HalfEEEvPT0_PKS5_iiiiiiiiT_S9_S9_S9_,"axG",@progbits,_ZN2at6native12_GLOBAL__N_131adaptive_average_gradinput_nhwcIiN3c104HalfEEEvPT0_PKS5_iiiiiiiiT_S9_S9_S9_,comdat
	.globl	_ZN2at6native12_GLOBAL__N_131adaptive_average_gradinput_nhwcIiN3c104HalfEEEvPT0_PKS5_iiiiiiiiT_S9_S9_S9_ ; -- Begin function _ZN2at6native12_GLOBAL__N_131adaptive_average_gradinput_nhwcIiN3c104HalfEEEvPT0_PKS5_iiiiiiiiT_S9_S9_S9_
	.p2align	8
	.type	_ZN2at6native12_GLOBAL__N_131adaptive_average_gradinput_nhwcIiN3c104HalfEEEvPT0_PKS5_iiiiiiiiT_S9_S9_S9_,@function
_ZN2at6native12_GLOBAL__N_131adaptive_average_gradinput_nhwcIiN3c104HalfEEEvPT0_PKS5_iiiiiiiiT_S9_S9_S9_: ; @_ZN2at6native12_GLOBAL__N_131adaptive_average_gradinput_nhwcIiN3c104HalfEEEvPT0_PKS5_iiiiiiiiT_S9_S9_S9_
; %bb.0:
	s_load_dwordx4 s[24:27], s[4:5], 0x44
	s_load_dwordx4 s[20:23], s[4:5], 0x30
	;; [unrolled: 1-line block ×3, first 2 shown]
	s_load_dwordx8 s[12:19], s[4:5], 0x10
	s_waitcnt lgkmcnt(0)
	s_lshr_b32 s33, s26, 16
	s_and_b32 s9, s26, 0xffff
	v_mad_u32_u24 v9, v2, s33, v1
	v_mad_u64_u32 v[3:4], s[0:1], v9, s9, v[0:1]
	s_and_b32 s36, s27, 0xffff
	s_mul_i32 s10, s33, s9
	s_mul_i32 s10, s10, s36
	v_cmp_gt_i32_e32 vcc, s15, v3
	s_and_saveexec_b64 s[2:3], vcc
	s_cbranch_execz .LBB10_3
; %bb.1:
	s_abs_i32 s11, s15
	v_cvt_f32_u32_e32 v4, s11
	s_sub_i32 s4, 0, s11
	s_mul_i32 s1, s17, s33
	s_add_i32 s0, s15, s17
	v_rcp_iflag_f32_e32 v5, v4
	v_mul_lo_u32 v4, s17, v3
	s_mul_i32 s37, s1, s9
	s_ashr_i32 s26, s15, 31
	v_mul_f32_e32 v5, 0x4f7ffffe, v5
	v_cvt_u32_f32_e32 v7, v5
	s_mov_b32 s27, 0
	v_lshl_add_u32 v5, v3, 2, 0
	s_lshl_b32 s34, s10, 2
	v_mul_lo_u32 v6, s4, v7
	s_lshl_b32 s35, s15, 2
	s_mov_b64 s[4:5], 0
	s_mul_i32 s37, s37, s36
	v_mul_hi_u32 v8, v7, v6
	v_add3_u32 v6, s0, v4, -1
	v_add_u32_e32 v7, v7, v8
	v_mov_b32_e32 v8, v3
.LBB10_2:                               ; =>This Inner Loop Header: Depth=1
	v_add_u32_e32 v10, s27, v4
	v_add_u32_e32 v11, s27, v6
	v_sub_u32_e32 v14, 0, v10
	v_ashrrev_i32_e32 v13, 31, v10
	v_ashrrev_i32_e32 v15, 31, v11
	v_sub_u32_e32 v16, 0, v11
	v_max_i32_e32 v10, v10, v14
	v_xor_b32_e32 v14, s26, v15
	v_max_i32_e32 v11, v11, v16
	v_mul_hi_u32 v15, v10, v7
	v_mul_hi_u32 v16, v11, v7
	v_add_u32_e32 v8, s10, v8
	s_add_i32 s27, s27, s37
	v_mul_lo_u32 v17, v15, s11
	v_mul_lo_u32 v18, v16, s11
	v_cmp_le_i32_e32 vcc, s15, v8
	s_or_b64 s[4:5], vcc, s[4:5]
	v_sub_u32_e32 v10, v10, v17
	v_add_u32_e32 v19, 1, v15
	v_sub_u32_e32 v11, v11, v18
	v_cmp_le_u32_e32 vcc, s11, v10
	v_subrev_u32_e32 v17, s11, v10
	v_add_u32_e32 v20, 1, v16
	v_cndmask_b32_e32 v15, v15, v19, vcc
	v_cmp_le_u32_e64 s[0:1], s11, v11
	v_subrev_u32_e32 v18, s11, v11
	v_cndmask_b32_e32 v10, v10, v17, vcc
	v_cndmask_b32_e64 v16, v16, v20, s[0:1]
	v_add_u32_e32 v17, 1, v15
	v_cndmask_b32_e64 v11, v11, v18, s[0:1]
	v_cmp_le_u32_e32 vcc, s11, v10
	v_xor_b32_e32 v13, s26, v13
	v_add_u32_e32 v18, 1, v16
	v_cndmask_b32_e32 v10, v15, v17, vcc
	v_cmp_le_u32_e32 vcc, s11, v11
	v_cndmask_b32_e32 v11, v16, v18, vcc
	v_xor_b32_e32 v10, v10, v13
	v_xor_b32_e32 v11, v11, v14
	v_sub_u32_e32 v10, v10, v13
	v_add_u32_e32 v12, s35, v5
	v_sub_u32_e32 v11, v11, v14
	ds_write_b32 v5, v10
	ds_write_b32 v12, v11
	v_add_u32_e32 v5, s34, v5
	s_andn2_b64 exec, exec, s[4:5]
	s_cbranch_execnz .LBB10_2
.LBB10_3:
	s_or_b64 exec, exec, s[2:3]
	v_cvt_f32_u32_e32 v4, s10
	v_cmp_gt_i32_e32 vcc, s16, v3
	v_rcp_iflag_f32_e32 v10, v4
	v_add_u32_e32 v4, s36, v2
	v_mad_u32_u24 v11, v4, s33, v1
	s_and_saveexec_b64 s[2:3], vcc
	s_cbranch_execz .LBB10_13
; %bb.4:
	v_mul_f32_e32 v4, 0x4f7ffffe, v10
	v_cvt_u32_f32_e32 v4, v4
	s_sub_i32 s0, 0, s10
	v_mul_lo_u32 v5, v11, s9
	s_mov_b64 s[4:5], 0
	v_mul_lo_u32 v6, s0, v4
                                        ; implicit-def: $vgpr16
                                        ; implicit-def: $vgpr15
                                        ; implicit-def: $vgpr13
	v_add_u32_e32 v7, v0, v5
	v_cmp_gt_i32_e32 vcc, s16, v7
	v_mul_hi_u32 v6, v4, v6
	v_max_i32_e32 v8, s16, v7
	v_addc_co_u32_e64 v5, s[0:1], v0, v5, vcc
	v_sub_u32_e32 v5, v8, v5
	v_add_u32_e32 v4, v4, v6
	v_mul_hi_u32 v4, v5, v4
                                        ; implicit-def: $vgpr8
	v_mul_lo_u32 v6, v4, s10
	v_add_u32_e32 v7, 1, v4
	v_sub_u32_e32 v5, v5, v6
	v_cmp_le_u32_e64 s[0:1], s10, v5
	v_subrev_u32_e32 v6, s10, v5
	v_cndmask_b32_e64 v4, v4, v7, s[0:1]
	v_cndmask_b32_e64 v5, v5, v6, s[0:1]
	v_add_u32_e32 v6, 1, v4
	v_cmp_le_u32_e64 s[0:1], s10, v5
	v_cndmask_b32_e64 v4, v4, v6, s[0:1]
	v_addc_co_u32_e32 v12, vcc, 1, v4, vcc
	v_cmp_lt_u32_e32 vcc, 1, v12
                                        ; implicit-def: $vgpr7
                                        ; implicit-def: $vgpr4
                                        ; implicit-def: $vgpr5_vgpr6
	s_and_saveexec_b64 s[0:1], vcc
	s_xor_b64 s[0:1], exec, s[0:1]
	s_cbranch_execnz .LBB10_7
; %bb.5:
	s_andn2_saveexec_b64 s[0:1], s[0:1]
	s_cbranch_execnz .LBB10_10
.LBB10_6:
	s_or_b64 exec, exec, s[0:1]
	s_and_b64 exec, exec, s[4:5]
	s_cbranch_execnz .LBB10_11
	s_branch .LBB10_13
.LBB10_7:
	s_abs_i32 s11, s16
	v_cvt_f32_u32_e32 v4, s11
	s_sub_i32 s4, 0, s11
	s_lshl_b32 s37, s15, 3
	s_lshl_b32 s38, s17, 1
	v_rcp_iflag_f32_e32 v5, v4
	v_add_u32_e32 v4, s10, v3
	s_add_i32 s42, s16, -1
	v_and_b32_e32 v13, -2, v12
	v_mul_f32_e32 v5, 0x4f7ffffe, v5
	v_cvt_u32_f32_e32 v5, v5
	s_lshl_b32 s27, s10, 1
	s_mov_b32 s34, s14
	s_mov_b32 s35, s14
	v_mul_lo_u32 v7, s4, v5
	s_add_i32 s4, s37, s38
	s_add_i32 s4, s4, 0
	s_ashr_i32 s26, s16, 31
	v_mul_hi_u32 v7, v5, v7
	v_mov_b32_e32 v6, 0
	s_mov_b32 s39, s27
	v_lshl_add_u32 v14, v3, 1, s4
	v_add_u32_e32 v5, v5, v7
	v_mov_b32_e32 v8, v4
	s_lshl_b32 s40, s10, 2
	s_mov_b64 s[4:5], 0
	s_add_i32 s41, s42, s14
	s_add_i32 s42, s42, s14
	v_mov_b32_e32 v15, v13
	v_mov_b32_e32 v7, v3
.LBB10_8:                               ; =>This Inner Loop Header: Depth=1
	v_mul_lo_u32 v17, v7, s34
	v_mul_lo_u32 v4, v8, s35
	v_add_u32_e32 v15, -2, v15
	v_add_u32_e32 v8, s39, v8
	v_add_u32_e32 v18, s42, v17
	v_sub_u32_e32 v20, 0, v18
	v_ashrrev_i32_e32 v19, 31, v18
	v_max_i32_e32 v18, v18, v20
	v_mul_hi_u32 v20, v18, v5
	v_add_u32_e32 v16, s41, v4
	v_xor_b32_e32 v19, s26, v19
	v_add_u32_e32 v7, s27, v7
	v_mul_lo_u32 v21, v20, s11
	v_sub_u32_e32 v18, v18, v21
	v_cmp_le_u32_e32 vcc, s11, v18
	v_add_u32_e32 v21, 1, v20
	v_cndmask_b32_e32 v20, v20, v21, vcc
	v_subrev_u32_e32 v21, s11, v18
	v_cndmask_b32_e32 v18, v18, v21, vcc
	v_cmp_le_u32_e32 vcc, s11, v18
	v_add_u32_e32 v18, 1, v20
	v_cndmask_b32_e32 v18, v20, v18, vcc
	v_xor_b32_e32 v18, v18, v19
	v_sub_u32_e32 v20, 0, v16
	v_sub_u32_e32 v18, v18, v19
	v_ashrrev_i32_e32 v19, 31, v16
	v_max_i32_e32 v16, v16, v20
	v_mul_hi_u32 v20, v16, v5
	v_xor_b32_e32 v19, s26, v19
	v_mul_lo_u32 v21, v20, s11
	v_sub_u32_e32 v16, v16, v21
	v_cmp_le_u32_e32 vcc, s11, v16
	v_add_u32_e32 v21, 1, v20
	v_cndmask_b32_e32 v20, v20, v21, vcc
	v_subrev_u32_e32 v21, s11, v16
	v_cndmask_b32_e32 v16, v16, v21, vcc
	v_cmp_le_u32_e32 vcc, s11, v16
	v_add_u32_e32 v16, 1, v20
	v_cndmask_b32_e32 v16, v20, v16, vcc
	v_xor_b32_e32 v16, v16, v19
	v_sub_u32_e32 v20, 0, v17
	v_sub_u32_e32 v16, v16, v19
	v_ashrrev_i32_e32 v19, 31, v17
	v_max_i32_e32 v17, v17, v20
	v_mul_hi_u32 v20, v17, v5
	v_xor_b32_e32 v19, s26, v19
	v_mul_lo_u32 v21, v20, s11
	v_sub_u32_e32 v17, v17, v21
	v_cmp_le_u32_e32 vcc, s11, v17
	v_add_u32_e32 v21, 1, v20
	v_cndmask_b32_e32 v20, v20, v21, vcc
	v_subrev_u32_e32 v21, s11, v17
	v_cndmask_b32_e32 v17, v17, v21, vcc
	v_cmp_le_u32_e32 vcc, s11, v17
	v_add_u32_e32 v17, 1, v20
	v_sub_u32_e32 v21, 0, v4
	v_cndmask_b32_e32 v17, v20, v17, vcc
	v_ashrrev_i32_e32 v20, 31, v4
	v_max_i32_e32 v4, v4, v21
	v_mul_hi_u32 v21, v4, v5
	v_xor_b32_e32 v17, v17, v19
	v_xor_b32_e32 v20, s26, v20
	v_sub_u32_e32 v17, v19, v17
	v_mul_lo_u32 v22, v21, s11
	v_add_u32_e32 v17, v18, v17
	v_sub_u32_e32 v4, v4, v22
	v_cmp_le_u32_e32 vcc, s11, v4
	v_add_u32_e32 v22, 1, v21
	v_cndmask_b32_e32 v21, v21, v22, vcc
	v_subrev_u32_e32 v22, s11, v4
	v_cndmask_b32_e32 v4, v4, v22, vcc
	v_cmp_le_u32_e32 vcc, s11, v4
	v_add_u32_e32 v4, 1, v21
	v_cndmask_b32_e32 v4, v21, v4, vcc
	v_xor_b32_e32 v4, v4, v20
	v_sub_u32_e32 v4, v20, v4
	v_add_u32_e32 v4, v16, v4
	v_cvt_f32_i32_e32 v16, v17
	v_cvt_f32_i32_e32 v4, v4
	v_cmp_eq_u32_e32 vcc, 0, v15
	v_add_u32_e32 v17, s27, v14
	v_cvt_f16_f32_e32 v16, v16
	v_cvt_f16_f32_e32 v4, v4
	s_or_b64 s[4:5], vcc, s[4:5]
	v_rcp_f16_e32 v16, v16
	v_rcp_f16_e32 v4, v4
	ds_write_b16 v14, v16
	ds_write_b16 v17, v4
	v_add_u32_e32 v14, s40, v14
	s_andn2_b64 exec, exec, s[4:5]
	s_cbranch_execnz .LBB10_8
; %bb.9:
	s_or_b64 exec, exec, s[4:5]
	v_mad_u64_u32 v[7:8], s[4:5], v13, s10, v[3:4]
	v_cmp_ne_u32_e32 vcc, v12, v13
	v_mov_b32_e32 v13, s27
	v_mov_b32_e32 v15, s38
	;; [unrolled: 1-line block ×5, first 2 shown]
	s_and_b64 s[4:5], vcc, exec
	s_andn2_saveexec_b64 s[0:1], s[0:1]
	s_cbranch_execz .LBB10_6
.LBB10_10:
	s_abs_i32 s11, s16
	v_cvt_f32_u32_e32 v4, s11
	s_sub_i32 s37, 0, s11
	s_ashr_i32 s26, s16, 31
	s_lshl_b32 s27, s15, 3
	v_rcp_iflag_f32_e32 v4, v4
	s_lshl_b32 s34, s17, 1
	s_lshl_b32 s35, s10, 1
	v_mov_b32_e32 v6, 0
	v_mul_f32_e32 v4, 0x4f7ffffe, v4
	v_cvt_u32_f32_e32 v5, v4
	s_or_b64 s[4:5], s[4:5], exec
	v_mov_b32_e32 v4, s26
	v_mov_b32_e32 v8, s11
	v_mul_lo_u32 v7, s37, v5
	v_mov_b32_e32 v16, s27
	v_mov_b32_e32 v15, s34
	;; [unrolled: 1-line block ×3, first 2 shown]
	v_mul_hi_u32 v7, v5, v7
	v_add_u32_e32 v5, v5, v7
	v_mov_b32_e32 v7, v3
	s_or_b64 exec, exec, s[0:1]
	s_and_b64 exec, exec, s[4:5]
	s_cbranch_execz .LBB10_13
.LBB10_11:
	v_mul_lo_u32 v12, v7, s14
	s_mul_i32 s0, s14, s33
	s_mul_i32 s11, s0, s9
	s_add_i32 s0, s16, s14
	v_lshl_add_u32 v16, v7, 1, v16
	s_mul_i32 s11, s11, s36
	v_add3_u32 v14, s0, v12, -1
	s_mov_b32 s26, 0
	v_add3_u32 v15, v16, v15, 0
	s_mov_b64 s[4:5], 0
.LBB10_12:                              ; =>This Inner Loop Header: Depth=1
	v_add_u32_e32 v16, s26, v14
	v_add_u32_e32 v17, s26, v12
	v_sub_u32_e32 v19, 0, v16
	v_sub_u32_e32 v21, 0, v17
	v_max_i32_e32 v23, v16, v19
	v_max_i32_e32 v21, v17, v21
	v_ashrrev_i32_e32 v18, 31, v16
	v_ashrrev_i32_e32 v20, 31, v17
	v_mul_hi_u32 v16, v23, v5
	v_mul_hi_u32 v17, v21, v5
	v_xor_b32_e32 v22, v18, v4
	v_xor_b32_e32 v20, v20, v4
	v_add_u32_e32 v7, s10, v7
	v_mad_u64_u32 v[18:19], s[0:1], v23, v6, v[16:17]
	s_add_i32 s26, s26, s11
	v_mad_u64_u32 v[16:17], s[0:1], v21, v6, v[17:18]
	v_mul_lo_u32 v17, v18, v8
	v_add_u32_e32 v24, 1, v18
	v_mul_lo_u32 v19, v16, v8
	v_add_u32_e32 v25, 1, v16
	v_sub_u32_e32 v17, v23, v17
	v_cmp_ge_u32_e32 vcc, v17, v8
	v_sub_u32_e32 v19, v21, v19
	v_sub_u32_e32 v21, v17, v8
	v_cndmask_b32_e32 v18, v18, v24, vcc
	v_cmp_ge_u32_e64 s[0:1], v19, v8
	v_sub_u32_e32 v23, v19, v8
	v_cndmask_b32_e32 v17, v17, v21, vcc
	v_cndmask_b32_e64 v16, v16, v25, s[0:1]
	v_add_u32_e32 v21, 1, v18
	v_cndmask_b32_e64 v19, v19, v23, s[0:1]
	v_cmp_ge_u32_e32 vcc, v17, v8
	v_add_u32_e32 v23, 1, v16
	v_cndmask_b32_e32 v17, v18, v21, vcc
	v_cmp_ge_u32_e32 vcc, v19, v8
	v_cndmask_b32_e32 v16, v16, v23, vcc
	v_xor_b32_e32 v17, v17, v22
	v_xor_b32_e32 v16, v16, v20
	v_sub_u32_e32 v17, v17, v22
	v_sub_u32_e32 v16, v20, v16
	v_add_u32_e32 v16, v17, v16
	v_cvt_f32_i32_e32 v16, v16
	v_cmp_le_i32_e32 vcc, s16, v7
	s_or_b64 s[4:5], vcc, s[4:5]
	v_cvt_f16_f32_e32 v16, v16
	v_rcp_f16_e32 v16, v16
	ds_write_b16 v15, v16
	v_add_u32_e32 v15, v15, v13
	s_andn2_b64 exec, exec, s[4:5]
	s_cbranch_execnz .LBB10_12
.LBB10_13:
	s_or_b64 exec, exec, s[2:3]
	v_cmp_gt_i32_e32 vcc, s17, v3
	s_and_saveexec_b64 s[2:3], vcc
	s_cbranch_execz .LBB10_23
; %bb.14:
	v_mul_f32_e32 v4, 0x4f7ffffe, v10
	v_cvt_u32_f32_e32 v4, v4
	s_sub_i32 s0, 0, s10
	v_mul_lo_u32 v5, v11, s9
	s_mov_b64 s[4:5], 0
	v_mul_lo_u32 v6, s0, v4
                                        ; implicit-def: $vgpr13
                                        ; implicit-def: $vgpr11
	v_add_u32_e32 v7, v0, v5
	v_cmp_gt_i32_e32 vcc, s17, v7
	v_mul_hi_u32 v6, v4, v6
	v_max_i32_e32 v8, s17, v7
	v_addc_co_u32_e64 v5, s[0:1], v0, v5, vcc
	v_sub_u32_e32 v5, v8, v5
	v_add_u32_e32 v4, v4, v6
	v_mul_hi_u32 v4, v5, v4
                                        ; implicit-def: $vgpr8
	v_mul_lo_u32 v6, v4, s10
	v_add_u32_e32 v7, 1, v4
	v_sub_u32_e32 v5, v5, v6
	v_cmp_le_u32_e64 s[0:1], s10, v5
	v_subrev_u32_e32 v6, s10, v5
	v_cndmask_b32_e64 v4, v4, v7, s[0:1]
	v_cndmask_b32_e64 v5, v5, v6, s[0:1]
	v_add_u32_e32 v6, 1, v4
	v_cmp_le_u32_e64 s[0:1], s10, v5
	v_cndmask_b32_e64 v4, v4, v6, s[0:1]
	v_addc_co_u32_e32 v10, vcc, 1, v4, vcc
	v_cmp_lt_u32_e32 vcc, 1, v10
                                        ; implicit-def: $vgpr7
                                        ; implicit-def: $vgpr4
                                        ; implicit-def: $vgpr5_vgpr6
	s_and_saveexec_b64 s[0:1], vcc
	s_xor_b64 s[0:1], exec, s[0:1]
	s_cbranch_execnz .LBB10_17
; %bb.15:
	s_andn2_saveexec_b64 s[0:1], s[0:1]
	s_cbranch_execnz .LBB10_20
.LBB10_16:
	s_or_b64 exec, exec, s[0:1]
	s_and_b64 exec, exec, s[4:5]
	s_cbranch_execnz .LBB10_21
	s_branch .LBB10_23
.LBB10_17:
	s_abs_i32 s11, s17
	v_cvt_f32_u32_e32 v4, s11
	s_sub_i32 s4, 0, s11
	s_lshl_b32 s37, s15, 3
	s_add_i32 s41, s17, -1
	v_rcp_iflag_f32_e32 v5, v4
	v_add_u32_e32 v4, s10, v3
	v_and_b32_e32 v11, -2, v10
	s_lshl_b32 s27, s10, 1
	v_mul_f32_e32 v5, 0x4f7ffffe, v5
	v_cvt_u32_f32_e32 v5, v5
	s_mov_b32 s34, s15
	s_mov_b32 s35, s15
	s_ashr_i32 s26, s17, 31
	v_mul_lo_u32 v7, s4, v5
	s_add_i32 s4, s37, 0
	v_mov_b32_e32 v6, 0
	s_lshl_b32 s38, s10, 2
	v_mul_hi_u32 v7, v5, v7
	s_mov_b32 s39, s27
	v_lshl_add_u32 v12, v3, 1, s4
	s_mov_b64 s[4:5], 0
	v_add_u32_e32 v5, v5, v7
	v_mov_b32_e32 v8, v4
	s_add_i32 s40, s41, s15
	s_add_i32 s41, s41, s15
	v_mov_b32_e32 v13, v11
	v_mov_b32_e32 v7, v3
.LBB10_18:                              ; =>This Inner Loop Header: Depth=1
	v_mul_lo_u32 v15, v7, s34
	v_mul_lo_u32 v4, v8, s35
	v_add_u32_e32 v13, -2, v13
	v_add_u32_e32 v8, s39, v8
	v_add_u32_e32 v16, s41, v15
	v_sub_u32_e32 v18, 0, v16
	v_ashrrev_i32_e32 v17, 31, v16
	v_max_i32_e32 v16, v16, v18
	v_mul_hi_u32 v18, v16, v5
	v_add_u32_e32 v14, s40, v4
	v_xor_b32_e32 v17, s26, v17
	v_add_u32_e32 v7, s27, v7
	v_mul_lo_u32 v19, v18, s11
	v_sub_u32_e32 v16, v16, v19
	v_cmp_le_u32_e32 vcc, s11, v16
	v_add_u32_e32 v19, 1, v18
	v_cndmask_b32_e32 v18, v18, v19, vcc
	v_subrev_u32_e32 v19, s11, v16
	v_cndmask_b32_e32 v16, v16, v19, vcc
	v_cmp_le_u32_e32 vcc, s11, v16
	v_add_u32_e32 v16, 1, v18
	v_cndmask_b32_e32 v16, v18, v16, vcc
	v_xor_b32_e32 v16, v16, v17
	v_sub_u32_e32 v18, 0, v14
	v_sub_u32_e32 v16, v16, v17
	v_ashrrev_i32_e32 v17, 31, v14
	v_max_i32_e32 v14, v14, v18
	v_mul_hi_u32 v18, v14, v5
	v_xor_b32_e32 v17, s26, v17
	v_mul_lo_u32 v19, v18, s11
	v_sub_u32_e32 v14, v14, v19
	v_cmp_le_u32_e32 vcc, s11, v14
	v_add_u32_e32 v19, 1, v18
	v_cndmask_b32_e32 v18, v18, v19, vcc
	v_subrev_u32_e32 v19, s11, v14
	v_cndmask_b32_e32 v14, v14, v19, vcc
	v_cmp_le_u32_e32 vcc, s11, v14
	v_add_u32_e32 v14, 1, v18
	v_cndmask_b32_e32 v14, v18, v14, vcc
	v_xor_b32_e32 v14, v14, v17
	v_sub_u32_e32 v18, 0, v15
	v_sub_u32_e32 v14, v14, v17
	v_ashrrev_i32_e32 v17, 31, v15
	v_max_i32_e32 v15, v15, v18
	v_mul_hi_u32 v18, v15, v5
	v_xor_b32_e32 v17, s26, v17
	v_mul_lo_u32 v19, v18, s11
	v_sub_u32_e32 v15, v15, v19
	v_cmp_le_u32_e32 vcc, s11, v15
	v_add_u32_e32 v19, 1, v18
	v_cndmask_b32_e32 v18, v18, v19, vcc
	v_subrev_u32_e32 v19, s11, v15
	v_cndmask_b32_e32 v15, v15, v19, vcc
	v_cmp_le_u32_e32 vcc, s11, v15
	v_add_u32_e32 v15, 1, v18
	v_sub_u32_e32 v19, 0, v4
	v_cndmask_b32_e32 v15, v18, v15, vcc
	v_ashrrev_i32_e32 v18, 31, v4
	v_max_i32_e32 v4, v4, v19
	v_mul_hi_u32 v19, v4, v5
	v_xor_b32_e32 v15, v15, v17
	v_xor_b32_e32 v18, s26, v18
	v_sub_u32_e32 v15, v17, v15
	v_mul_lo_u32 v20, v19, s11
	v_add_u32_e32 v15, v16, v15
	v_sub_u32_e32 v4, v4, v20
	v_cmp_le_u32_e32 vcc, s11, v4
	v_add_u32_e32 v20, 1, v19
	v_cndmask_b32_e32 v19, v19, v20, vcc
	v_subrev_u32_e32 v20, s11, v4
	v_cndmask_b32_e32 v4, v4, v20, vcc
	v_cmp_le_u32_e32 vcc, s11, v4
	v_add_u32_e32 v4, 1, v19
	v_cndmask_b32_e32 v4, v19, v4, vcc
	v_xor_b32_e32 v4, v4, v18
	v_sub_u32_e32 v4, v18, v4
	v_add_u32_e32 v4, v14, v4
	v_cvt_f32_i32_e32 v14, v15
	v_cvt_f32_i32_e32 v4, v4
	v_cmp_eq_u32_e32 vcc, 0, v13
	v_add_u32_e32 v15, s27, v12
	v_cvt_f16_f32_e32 v14, v14
	v_cvt_f16_f32_e32 v4, v4
	s_or_b64 s[4:5], vcc, s[4:5]
	v_rcp_f16_e32 v14, v14
	v_rcp_f16_e32 v4, v4
	ds_write_b16 v12, v14
	ds_write_b16 v15, v4
	v_add_u32_e32 v12, s38, v12
	s_andn2_b64 exec, exec, s[4:5]
	s_cbranch_execnz .LBB10_18
; %bb.19:
	s_or_b64 exec, exec, s[4:5]
	v_mad_u64_u32 v[7:8], s[4:5], v11, s10, v[3:4]
	v_cmp_ne_u32_e32 vcc, v10, v11
	v_mov_b32_e32 v11, s27
	v_mov_b32_e32 v13, s37
	;; [unrolled: 1-line block ×4, first 2 shown]
	s_and_b64 s[4:5], vcc, exec
	s_andn2_saveexec_b64 s[0:1], s[0:1]
	s_cbranch_execz .LBB10_16
.LBB10_20:
	s_abs_i32 s11, s17
	v_cvt_f32_u32_e32 v4, s11
	s_sub_i32 s34, 0, s11
	s_ashr_i32 s26, s17, 31
	s_lshl_b32 s27, s15, 3
	v_rcp_iflag_f32_e32 v4, v4
	v_mov_b32_e32 v6, 0
	s_or_b64 s[4:5], s[4:5], exec
	v_mov_b32_e32 v8, s11
	v_mul_f32_e32 v4, 0x4f7ffffe, v4
	v_cvt_u32_f32_e32 v5, v4
	v_mov_b32_e32 v4, s26
	v_mov_b32_e32 v13, s27
	v_mul_lo_u32 v7, s34, v5
	s_lshl_b32 s34, s10, 1
	v_mov_b32_e32 v11, s34
	v_mul_hi_u32 v7, v5, v7
	v_add_u32_e32 v5, v5, v7
	v_mov_b32_e32 v7, v3
	s_or_b64 exec, exec, s[0:1]
	s_and_b64 exec, exec, s[4:5]
	s_cbranch_execz .LBB10_23
.LBB10_21:
	v_mul_lo_u32 v10, v7, s15
	s_mul_i32 s0, s15, s33
	s_mul_i32 s11, s0, s9
	s_add_i32 s0, s17, s15
	v_lshlrev_b32_e32 v14, 1, v7
	s_mul_i32 s11, s11, s36
	v_add3_u32 v12, s0, v10, -1
	s_mov_b32 s26, 0
	v_add3_u32 v13, v13, v14, 0
	s_mov_b64 s[4:5], 0
.LBB10_22:                              ; =>This Inner Loop Header: Depth=1
	v_add_u32_e32 v14, s26, v12
	v_add_u32_e32 v15, s26, v10
	v_sub_u32_e32 v17, 0, v14
	v_sub_u32_e32 v19, 0, v15
	v_max_i32_e32 v21, v14, v17
	v_max_i32_e32 v19, v15, v19
	v_ashrrev_i32_e32 v16, 31, v14
	v_ashrrev_i32_e32 v18, 31, v15
	v_mul_hi_u32 v14, v21, v5
	v_mul_hi_u32 v15, v19, v5
	v_xor_b32_e32 v20, v16, v4
	v_xor_b32_e32 v18, v18, v4
	v_add_u32_e32 v7, s10, v7
	v_mad_u64_u32 v[16:17], s[0:1], v21, v6, v[14:15]
	s_add_i32 s26, s26, s11
	v_mad_u64_u32 v[14:15], s[0:1], v19, v6, v[15:16]
	v_mul_lo_u32 v15, v16, v8
	v_add_u32_e32 v22, 1, v16
	v_mul_lo_u32 v17, v14, v8
	v_add_u32_e32 v23, 1, v14
	v_sub_u32_e32 v15, v21, v15
	v_cmp_ge_u32_e32 vcc, v15, v8
	v_sub_u32_e32 v17, v19, v17
	v_sub_u32_e32 v19, v15, v8
	v_cndmask_b32_e32 v16, v16, v22, vcc
	v_cmp_ge_u32_e64 s[0:1], v17, v8
	v_sub_u32_e32 v21, v17, v8
	v_cndmask_b32_e32 v15, v15, v19, vcc
	v_cndmask_b32_e64 v14, v14, v23, s[0:1]
	v_add_u32_e32 v19, 1, v16
	v_cndmask_b32_e64 v17, v17, v21, s[0:1]
	v_cmp_ge_u32_e32 vcc, v15, v8
	v_add_u32_e32 v21, 1, v14
	v_cndmask_b32_e32 v15, v16, v19, vcc
	v_cmp_ge_u32_e32 vcc, v17, v8
	v_cndmask_b32_e32 v14, v14, v21, vcc
	v_xor_b32_e32 v15, v15, v20
	v_xor_b32_e32 v14, v14, v18
	v_sub_u32_e32 v15, v15, v20
	v_sub_u32_e32 v14, v18, v14
	v_add_u32_e32 v14, v15, v14
	v_cvt_f32_i32_e32 v14, v14
	v_cmp_le_i32_e32 vcc, s17, v7
	s_or_b64 s[4:5], vcc, s[4:5]
	v_cvt_f16_f32_e32 v14, v14
	v_rcp_f16_e32 v14, v14
	ds_write_b16 v13, v14
	v_add_u32_e32 v13, v13, v11
	s_andn2_b64 exec, exec, s[4:5]
	s_cbranch_execnz .LBB10_22
.LBB10_23:
	s_or_b64 exec, exec, s[2:3]
	v_cvt_f32_u32_e32 v4, s12
	s_sub_i32 s0, 0, s12
	s_mul_i32 s5, s10, s19
	v_cmp_gt_u32_e32 vcc, s5, v3
	v_rcp_iflag_f32_e32 v4, v4
	v_mul_f32_e32 v4, 0x4f7ffffe, v4
	v_cvt_u32_f32_e32 v4, v4
	v_readfirstlane_b32 s1, v4
	s_mul_i32 s0, s0, s1
	s_mul_hi_u32 s0, s1, s0
	s_add_i32 s1, s1, s0
	s_mul_hi_u32 s4, s6, s1
	s_and_saveexec_b64 s[0:1], vcc
	s_cbranch_execz .LBB10_26
; %bb.24:
	s_lshl_b32 s2, s15, 3
	s_lshl_b32 s3, s17, 1
	s_add_i32 s2, s2, s3
	s_lshl_b32 s3, s16, 1
	s_add_i32 s2, s2, s3
	s_add_i32 s2, s2, 0
	v_lshl_add_u32 v4, v3, 1, s2
	s_lshl_b32 s11, s10, 1
	s_mov_b64 s[2:3], 0
	v_mov_b32_e32 v5, 0
.LBB10_25:                              ; =>This Inner Loop Header: Depth=1
	v_add_u32_e32 v3, s10, v3
	v_cmp_le_u32_e32 vcc, s5, v3
	ds_write_b16 v4, v5
	s_or_b64 s[2:3], vcc, s[2:3]
	v_add_u32_e32 v4, s11, v4
	s_andn2_b64 exec, exec, s[2:3]
	s_cbranch_execnz .LBB10_25
.LBB10_26:
	s_or_b64 exec, exec, s[0:1]
	v_cvt_f32_u32_e32 v3, s25
	s_sub_i32 s0, 0, s25
	s_add_i32 s2, s14, -1
	v_cvt_f32_u32_e32 v4, s24
	v_rcp_iflag_f32_e32 v3, v3
	s_add_i32 s1, s2, s25
	s_waitcnt lgkmcnt(0)
	v_rcp_iflag_f32_e32 v4, v4
	v_mul_f32_e32 v3, 0x4f7ffffe, v3
	v_cvt_u32_f32_e32 v3, v3
	s_barrier
	v_readfirstlane_b32 s3, v3
	s_mul_i32 s0, s0, s3
	s_mul_hi_u32 s0, s3, s0
	s_add_i32 s3, s3, s0
	s_mul_hi_u32 s0, s1, s3
	s_mul_i32 s3, s0, s25
	s_sub_i32 s1, s1, s3
	s_add_i32 s5, s0, 1
	s_sub_i32 s3, s1, s25
	s_cmp_ge_u32 s1, s25
	s_cselect_b32 s0, s5, s0
	s_cselect_b32 s1, s3, s1
	v_mul_f32_e32 v3, 0x4f7ffffe, v4
	s_add_i32 s3, s0, 1
	v_cvt_u32_f32_e32 v3, v3
	s_cmp_ge_u32 s1, s25
	s_cselect_b32 s1, s3, s0
	s_mul_i32 s3, s1, s8
	v_add_u32_e32 v2, s3, v2
	v_readfirstlane_b32 s0, v3
	v_add_u32_e32 v3, s1, v2
	v_min_i32_e32 v3, s14, v3
	v_cmp_lt_i32_e32 vcc, v2, v3
	s_and_saveexec_b64 s[10:11], vcc
	s_cbranch_execz .LBB10_44
; %bb.27:
	s_add_i32 s1, s15, s24
	s_add_i32 s3, s1, -1
	s_sub_i32 s1, 0, s24
	s_mul_i32 s1, s1, s0
	s_mul_hi_u32 s1, s0, s1
	s_add_i32 s0, s0, s1
	s_mul_hi_u32 s5, s3, s0
	s_mul_i32 s0, s4, s12
	s_sub_i32 s0, s6, s0
	s_add_i32 s1, s4, 1
	s_sub_i32 s8, s0, s12
	s_cmp_ge_u32 s0, s12
	s_cselect_b32 s1, s1, s4
	s_cselect_b32 s0, s8, s0
	s_add_i32 s4, s1, 1
	s_cmp_ge_u32 s0, s12
	s_cselect_b32 s4, s4, s1
	s_mul_i32 s0, s4, s12
	s_sub_i32 s6, s6, s0
	s_mul_i32 s0, s14, s13
	s_mul_i32 s0, s0, s15
	;; [unrolled: 1-line block ×3, first 2 shown]
	s_ashr_i32 s1, s0, 31
	s_lshl_b64 s[0:1], s[0:1], 1
	s_add_u32 s12, s28, s0
	s_mul_i32 s0, s6, s20
	s_addc_u32 s37, s29, s1
	s_ashr_i32 s1, s0, 31
	s_lshl_b64 s[0:1], s[0:1], 1
	s_add_u32 s38, s30, s0
	s_mul_i32 s0, s5, s24
	s_addc_u32 s39, s31, s1
	s_sub_i32 s0, s3, s0
	s_add_i32 s1, s5, 1
	s_sub_i32 s3, s0, s24
	s_cmp_ge_u32 s0, s24
	s_cselect_b32 s1, s1, s5
	s_cselect_b32 s0, s3, s0
	s_add_i32 s3, s1, 1
	s_cmp_ge_u32 s0, s24
	s_cselect_b32 s0, s3, s1
	s_mul_i32 s1, s0, s7
	s_abs_i32 s40, s14
	v_add_u32_e32 v4, s1, v1
	v_cvt_f32_u32_e32 v1, s40
	v_add_u32_e32 v5, s0, v4
	s_lshl_b32 s0, s15, 2
	s_add_i32 s41, s0, 0
	v_rcp_iflag_f32_e32 v1, v1
	s_add_i32 s42, s41, s0
	s_sub_i32 s0, 0, s40
	v_mul_lo_u32 v8, s19, v9
	v_mul_f32_e32 v1, 0x4f7ffffe, v1
	v_cvt_u32_f32_e32 v1, v1
	s_mul_i32 s4, s4, s9
	v_add_u32_e32 v6, s4, v0
	s_add_i32 s44, s16, s2
	v_mul_lo_u32 v7, s0, v1
	s_lshl_b32 s2, s15, 3
	s_lshl_b32 s3, s17, 1
	v_min_i32_e32 v5, s15, v5
	v_mul_hi_u32 v7, v1, v7
	s_mul_i32 s43, s18, s9
	v_lshlrev_b32_e32 v0, 1, v0
	s_add_i32 s17, s42, s3
	v_add_u32_e32 v7, v1, v7
	v_mul_lo_u32 v1, v8, s9
	v_mul_lo_u32 v8, s21, v6
	v_cmp_lt_i32_e32 vcc, v4, v5
	v_cmp_gt_i32_e64 s[0:1], s13, v6
	v_lshl_add_u32 v1, v1, 1, s2
	s_lshl_b32 s2, s16, 1
	s_add_i32 s2, s2, 0
	s_add_i32 s2, s2, s3
	s_ashr_i32 s14, s14, 31
	s_mul_i32 s45, s43, s21
	v_add3_u32 v9, v1, v0, s2
	s_lshl_b32 s46, s9, 1
	s_mov_b64 s[8:9], 0
	s_branch .LBB10_29
.LBB10_28:                              ;   in Loop: Header=BB10_29 Depth=1
	s_or_b64 exec, exec, s[10:11]
	v_add_u32_e32 v2, s36, v2
	v_cmp_ge_i32_e64 s[2:3], v2, v3
	s_or_b64 s[8:9], s[2:3], s[8:9]
	s_andn2_b64 exec, exec, s[8:9]
	s_cbranch_execz .LBB10_44
.LBB10_29:                              ; =>This Loop Header: Depth=1
                                        ;     Child Loop BB10_32 Depth 2
                                        ;       Child Loop BB10_35 Depth 3
                                        ;         Child Loop BB10_38 Depth 4
                                        ;           Child Loop BB10_40 Depth 5
                                        ;       Child Loop BB10_43 Depth 3
	s_and_saveexec_b64 s[10:11], vcc
	s_cbranch_execz .LBB10_28
; %bb.30:                               ;   in Loop: Header=BB10_29 Depth=1
	v_mul_lo_u32 v0, v2, s16
	s_mov_b64 s[18:19], 0
	v_sub_u32_e32 v1, 0, v0
	v_max_i32_e32 v1, v0, v1
	v_mul_hi_u32 v10, v1, v7
	v_ashrrev_i32_e32 v11, 31, v0
	v_add_u32_e32 v0, s44, v0
	v_sub_u32_e32 v13, 0, v0
	v_mul_lo_u32 v12, v10, s40
	v_max_i32_e32 v13, v0, v13
	v_add_u32_e32 v14, 1, v10
	v_xor_b32_e32 v11, s14, v11
	v_sub_u32_e32 v1, v1, v12
	v_cmp_le_u32_e64 s[2:3], s40, v1
	v_cndmask_b32_e64 v10, v10, v14, s[2:3]
	v_mul_hi_u32 v14, v13, v7
	v_subrev_u32_e32 v12, s40, v1
	v_cndmask_b32_e64 v1, v1, v12, s[2:3]
	v_add_u32_e32 v12, 1, v10
	v_cmp_le_u32_e64 s[2:3], s40, v1
	v_cndmask_b32_e64 v1, v10, v12, s[2:3]
	v_mul_lo_u32 v12, v14, s40
	v_xor_b32_e32 v1, v1, v11
	v_sub_u32_e32 v10, v1, v11
	v_add_u32_e32 v11, 1, v14
	v_sub_u32_e32 v1, v13, v12
	v_cmp_le_u32_e64 s[2:3], s40, v1
	v_subrev_u32_e32 v12, s40, v1
	v_cndmask_b32_e64 v11, v14, v11, s[2:3]
	v_cndmask_b32_e64 v1, v1, v12, s[2:3]
	v_ashrrev_i32_e32 v0, 31, v0
	v_add_u32_e32 v12, 1, v11
	v_cmp_le_u32_e64 s[2:3], s40, v1
	v_xor_b32_e32 v0, s14, v0
	v_cndmask_b32_e64 v1, v11, v12, s[2:3]
	v_mul_lo_u32 v12, v2, s15
	v_xor_b32_e32 v1, v1, v0
	v_sub_u32_e32 v11, v1, v0
	v_cmp_lt_i32_e64 s[2:3], v10, v11
	v_mov_b32_e32 v13, v4
	s_branch .LBB10_32
.LBB10_31:                              ;   in Loop: Header=BB10_32 Depth=2
	s_or_b64 exec, exec, s[20:21]
	v_add_u32_e32 v13, s33, v13
	v_cmp_ge_i32_e64 s[4:5], v13, v5
	s_or_b64 s[18:19], s[4:5], s[18:19]
	s_andn2_b64 exec, exec, s[18:19]
	s_cbranch_execz .LBB10_28
.LBB10_32:                              ;   Parent Loop BB10_29 Depth=1
                                        ; =>  This Loop Header: Depth=2
                                        ;       Child Loop BB10_35 Depth 3
                                        ;         Child Loop BB10_38 Depth 4
                                        ;           Child Loop BB10_40 Depth 5
                                        ;       Child Loop BB10_43 Depth 3
	s_and_saveexec_b64 s[20:21], s[2:3]
	s_cbranch_execz .LBB10_41
; %bb.33:                               ;   in Loop: Header=BB10_32 Depth=2
	v_lshlrev_b32_e32 v0, 2, v13
	v_add_u32_e32 v1, 0, v0
	v_add_u32_e32 v0, s41, v0
	ds_read_b32 v14, v1
	ds_read_b32 v15, v0
	s_mov_b64 s[24:25], 0
	v_mov_b32_e32 v16, v10
	s_waitcnt lgkmcnt(0)
	v_cmp_lt_i32_e64 s[4:5], v14, v15
	s_branch .LBB10_35
.LBB10_34:                              ;   in Loop: Header=BB10_35 Depth=3
	s_or_b64 exec, exec, s[26:27]
	v_add_u32_e32 v16, 1, v16
	v_cmp_ge_i32_e64 s[6:7], v16, v11
	s_or_b64 s[24:25], s[6:7], s[24:25]
	s_andn2_b64 exec, exec, s[24:25]
	s_cbranch_execz .LBB10_41
.LBB10_35:                              ;   Parent Loop BB10_29 Depth=1
                                        ;     Parent Loop BB10_32 Depth=2
                                        ; =>    This Loop Header: Depth=3
                                        ;         Child Loop BB10_38 Depth 4
                                        ;           Child Loop BB10_40 Depth 5
	s_and_saveexec_b64 s[26:27], s[4:5]
	s_cbranch_execz .LBB10_34
; %bb.36:                               ;   in Loop: Header=BB10_35 Depth=3
	v_mul_lo_u32 v0, v16, s22
	v_mov_b32_e32 v19, s39
	v_lshl_add_u32 v17, v16, 1, s17
	s_mov_b64 s[28:29], 0
	v_ashrrev_i32_e32 v1, 31, v0
	v_lshlrev_b64 v[0:1], 1, v[0:1]
	v_mov_b32_e32 v20, v14
	v_add_co_u32_e64 v18, s[6:7], s38, v0
	v_addc_co_u32_e64 v19, s[6:7], v19, v1, s[6:7]
	s_branch .LBB10_38
.LBB10_37:                              ;   in Loop: Header=BB10_38 Depth=4
	s_or_b64 exec, exec, s[30:31]
	v_add_u32_e32 v20, 1, v20
	v_cmp_ge_i32_e64 s[6:7], v20, v15
	s_or_b64 s[28:29], s[6:7], s[28:29]
	s_andn2_b64 exec, exec, s[28:29]
	s_cbranch_execz .LBB10_34
.LBB10_38:                              ;   Parent Loop BB10_29 Depth=1
                                        ;     Parent Loop BB10_32 Depth=2
                                        ;       Parent Loop BB10_35 Depth=3
                                        ; =>      This Loop Header: Depth=4
                                        ;           Child Loop BB10_40 Depth 5
	s_and_saveexec_b64 s[30:31], s[0:1]
	s_cbranch_execz .LBB10_37
; %bb.39:                               ;   in Loop: Header=BB10_38 Depth=4
	v_mul_lo_u32 v0, v20, s23
	v_lshl_add_u32 v1, v20, 1, s42
	ds_read_u16 v21, v1
	ds_read_u16 v22, v17
	s_mov_b64 s[34:35], 0
	v_ashrrev_i32_e32 v1, 31, v0
	v_lshlrev_b64 v[0:1], 1, v[0:1]
	v_mov_b32_e32 v24, v9
	s_waitcnt lgkmcnt(0)
	v_mul_f16_e32 v21, v21, v22
	v_add_co_u32_e64 v22, s[6:7], v18, v0
	v_addc_co_u32_e64 v23, s[6:7], v19, v1, s[6:7]
	v_mov_b32_e32 v0, v8
	v_mov_b32_e32 v25, v6
.LBB10_40:                              ;   Parent Loop BB10_29 Depth=1
                                        ;     Parent Loop BB10_32 Depth=2
                                        ;       Parent Loop BB10_35 Depth=3
                                        ;         Parent Loop BB10_38 Depth=4
                                        ; =>        This Inner Loop Header: Depth=5
	v_ashrrev_i32_e32 v1, 31, v0
	v_lshlrev_b64 v[26:27], 1, v[0:1]
	v_add_u32_e32 v25, s43, v25
	v_add_co_u32_e64 v26, s[6:7], v22, v26
	v_addc_co_u32_e64 v27, s[6:7], v23, v27, s[6:7]
	global_load_ushort v1, v[26:27], off
	ds_read_u16 v26, v24
	v_cmp_le_i32_e64 s[6:7], s13, v25
	v_add_u32_e32 v0, s45, v0
	s_or_b64 s[34:35], s[6:7], s[34:35]
	s_waitcnt vmcnt(0) lgkmcnt(0)
	v_fma_f16 v1, v21, v1, v26
	ds_write_b16 v24, v1
	v_add_u32_e32 v24, s46, v24
	s_andn2_b64 exec, exec, s[34:35]
	s_cbranch_execnz .LBB10_40
	s_branch .LBB10_37
.LBB10_41:                              ;   in Loop: Header=BB10_32 Depth=2
	s_or_b64 exec, exec, s[20:21]
	s_and_saveexec_b64 s[20:21], s[0:1]
	s_cbranch_execz .LBB10_31
; %bb.42:                               ;   in Loop: Header=BB10_32 Depth=2
	v_add_u32_e32 v0, v13, v12
	v_mul_lo_u32 v0, v0, s13
	v_mov_b32_e32 v15, s37
	s_mov_b64 s[24:25], 0
	v_mov_b32_e32 v16, v9
	v_ashrrev_i32_e32 v1, 31, v0
	v_lshlrev_b64 v[0:1], 1, v[0:1]
	v_add_co_u32_e64 v14, s[4:5], s12, v0
	v_addc_co_u32_e64 v15, s[4:5], v15, v1, s[4:5]
	v_mov_b32_e32 v0, v6
.LBB10_43:                              ;   Parent Loop BB10_29 Depth=1
                                        ;     Parent Loop BB10_32 Depth=2
                                        ; =>    This Inner Loop Header: Depth=3
	v_ashrrev_i32_e32 v1, 31, v0
	ds_read_u16 v19, v16
	v_mov_b32_e32 v17, 0
	ds_write_b16 v16, v17
	v_lshlrev_b64 v[17:18], 1, v[0:1]
	v_add_u32_e32 v0, s43, v0
	v_cmp_le_i32_e64 s[4:5], s13, v0
	v_add_co_u32_e64 v17, s[6:7], v14, v17
	v_add_u32_e32 v16, s46, v16
	v_addc_co_u32_e64 v18, s[6:7], v15, v18, s[6:7]
	s_or_b64 s[24:25], s[4:5], s[24:25]
	s_waitcnt lgkmcnt(1)
	global_store_short v[17:18], v19, off
	s_andn2_b64 exec, exec, s[24:25]
	s_cbranch_execnz .LBB10_43
	s_branch .LBB10_31
.LBB10_44:
	s_endpgm
	.section	.rodata,"a",@progbits
	.p2align	6, 0x0
	.amdhsa_kernel _ZN2at6native12_GLOBAL__N_131adaptive_average_gradinput_nhwcIiN3c104HalfEEEvPT0_PKS5_iiiiiiiiT_S9_S9_S9_
		.amdhsa_group_segment_fixed_size 0
		.amdhsa_private_segment_fixed_size 0
		.amdhsa_kernarg_size 320
		.amdhsa_user_sgpr_count 6
		.amdhsa_user_sgpr_private_segment_buffer 1
		.amdhsa_user_sgpr_dispatch_ptr 0
		.amdhsa_user_sgpr_queue_ptr 0
		.amdhsa_user_sgpr_kernarg_segment_ptr 1
		.amdhsa_user_sgpr_dispatch_id 0
		.amdhsa_user_sgpr_flat_scratch_init 0
		.amdhsa_user_sgpr_private_segment_size 0
		.amdhsa_uses_dynamic_stack 0
		.amdhsa_system_sgpr_private_segment_wavefront_offset 0
		.amdhsa_system_sgpr_workgroup_id_x 1
		.amdhsa_system_sgpr_workgroup_id_y 1
		.amdhsa_system_sgpr_workgroup_id_z 1
		.amdhsa_system_sgpr_workgroup_info 0
		.amdhsa_system_vgpr_workitem_id 2
		.amdhsa_next_free_vgpr 28
		.amdhsa_next_free_sgpr 47
		.amdhsa_reserve_vcc 1
		.amdhsa_reserve_flat_scratch 0
		.amdhsa_float_round_mode_32 0
		.amdhsa_float_round_mode_16_64 0
		.amdhsa_float_denorm_mode_32 3
		.amdhsa_float_denorm_mode_16_64 3
		.amdhsa_dx10_clamp 1
		.amdhsa_ieee_mode 1
		.amdhsa_fp16_overflow 0
		.amdhsa_exception_fp_ieee_invalid_op 0
		.amdhsa_exception_fp_denorm_src 0
		.amdhsa_exception_fp_ieee_div_zero 0
		.amdhsa_exception_fp_ieee_overflow 0
		.amdhsa_exception_fp_ieee_underflow 0
		.amdhsa_exception_fp_ieee_inexact 0
		.amdhsa_exception_int_div_zero 0
	.end_amdhsa_kernel
	.section	.text._ZN2at6native12_GLOBAL__N_131adaptive_average_gradinput_nhwcIiN3c104HalfEEEvPT0_PKS5_iiiiiiiiT_S9_S9_S9_,"axG",@progbits,_ZN2at6native12_GLOBAL__N_131adaptive_average_gradinput_nhwcIiN3c104HalfEEEvPT0_PKS5_iiiiiiiiT_S9_S9_S9_,comdat
.Lfunc_end10:
	.size	_ZN2at6native12_GLOBAL__N_131adaptive_average_gradinput_nhwcIiN3c104HalfEEEvPT0_PKS5_iiiiiiiiT_S9_S9_S9_, .Lfunc_end10-_ZN2at6native12_GLOBAL__N_131adaptive_average_gradinput_nhwcIiN3c104HalfEEEvPT0_PKS5_iiiiiiiiT_S9_S9_S9_
                                        ; -- End function
	.set _ZN2at6native12_GLOBAL__N_131adaptive_average_gradinput_nhwcIiN3c104HalfEEEvPT0_PKS5_iiiiiiiiT_S9_S9_S9_.num_vgpr, 28
	.set _ZN2at6native12_GLOBAL__N_131adaptive_average_gradinput_nhwcIiN3c104HalfEEEvPT0_PKS5_iiiiiiiiT_S9_S9_S9_.num_agpr, 0
	.set _ZN2at6native12_GLOBAL__N_131adaptive_average_gradinput_nhwcIiN3c104HalfEEEvPT0_PKS5_iiiiiiiiT_S9_S9_S9_.numbered_sgpr, 47
	.set _ZN2at6native12_GLOBAL__N_131adaptive_average_gradinput_nhwcIiN3c104HalfEEEvPT0_PKS5_iiiiiiiiT_S9_S9_S9_.num_named_barrier, 0
	.set _ZN2at6native12_GLOBAL__N_131adaptive_average_gradinput_nhwcIiN3c104HalfEEEvPT0_PKS5_iiiiiiiiT_S9_S9_S9_.private_seg_size, 0
	.set _ZN2at6native12_GLOBAL__N_131adaptive_average_gradinput_nhwcIiN3c104HalfEEEvPT0_PKS5_iiiiiiiiT_S9_S9_S9_.uses_vcc, 1
	.set _ZN2at6native12_GLOBAL__N_131adaptive_average_gradinput_nhwcIiN3c104HalfEEEvPT0_PKS5_iiiiiiiiT_S9_S9_S9_.uses_flat_scratch, 0
	.set _ZN2at6native12_GLOBAL__N_131adaptive_average_gradinput_nhwcIiN3c104HalfEEEvPT0_PKS5_iiiiiiiiT_S9_S9_S9_.has_dyn_sized_stack, 0
	.set _ZN2at6native12_GLOBAL__N_131adaptive_average_gradinput_nhwcIiN3c104HalfEEEvPT0_PKS5_iiiiiiiiT_S9_S9_S9_.has_recursion, 0
	.set _ZN2at6native12_GLOBAL__N_131adaptive_average_gradinput_nhwcIiN3c104HalfEEEvPT0_PKS5_iiiiiiiiT_S9_S9_S9_.has_indirect_call, 0
	.section	.AMDGPU.csdata,"",@progbits
; Kernel info:
; codeLenInByte = 4316
; TotalNumSgprs: 51
; NumVgprs: 28
; ScratchSize: 0
; MemoryBound: 0
; FloatMode: 240
; IeeeMode: 1
; LDSByteSize: 0 bytes/workgroup (compile time only)
; SGPRBlocks: 6
; VGPRBlocks: 6
; NumSGPRsForWavesPerEU: 51
; NumVGPRsForWavesPerEU: 28
; Occupancy: 9
; WaveLimiterHint : 0
; COMPUTE_PGM_RSRC2:SCRATCH_EN: 0
; COMPUTE_PGM_RSRC2:USER_SGPR: 6
; COMPUTE_PGM_RSRC2:TRAP_HANDLER: 0
; COMPUTE_PGM_RSRC2:TGID_X_EN: 1
; COMPUTE_PGM_RSRC2:TGID_Y_EN: 1
; COMPUTE_PGM_RSRC2:TGID_Z_EN: 1
; COMPUTE_PGM_RSRC2:TIDIG_COMP_CNT: 2
	.section	.text._ZN2at6native12_GLOBAL__N_131adaptive_average_gradinput_nhwcIiN3c108BFloat16EEEvPT0_PKS5_iiiiiiiiT_S9_S9_S9_,"axG",@progbits,_ZN2at6native12_GLOBAL__N_131adaptive_average_gradinput_nhwcIiN3c108BFloat16EEEvPT0_PKS5_iiiiiiiiT_S9_S9_S9_,comdat
	.globl	_ZN2at6native12_GLOBAL__N_131adaptive_average_gradinput_nhwcIiN3c108BFloat16EEEvPT0_PKS5_iiiiiiiiT_S9_S9_S9_ ; -- Begin function _ZN2at6native12_GLOBAL__N_131adaptive_average_gradinput_nhwcIiN3c108BFloat16EEEvPT0_PKS5_iiiiiiiiT_S9_S9_S9_
	.p2align	8
	.type	_ZN2at6native12_GLOBAL__N_131adaptive_average_gradinput_nhwcIiN3c108BFloat16EEEvPT0_PKS5_iiiiiiiiT_S9_S9_S9_,@function
_ZN2at6native12_GLOBAL__N_131adaptive_average_gradinput_nhwcIiN3c108BFloat16EEEvPT0_PKS5_iiiiiiiiT_S9_S9_S9_: ; @_ZN2at6native12_GLOBAL__N_131adaptive_average_gradinput_nhwcIiN3c108BFloat16EEEvPT0_PKS5_iiiiiiiiT_S9_S9_S9_
; %bb.0:
	s_load_dwordx4 s[24:27], s[4:5], 0x44
	s_load_dwordx4 s[20:23], s[4:5], 0x30
	;; [unrolled: 1-line block ×3, first 2 shown]
	s_load_dwordx8 s[12:19], s[4:5], 0x10
	s_waitcnt lgkmcnt(0)
	s_lshr_b32 s33, s26, 16
	s_and_b32 s9, s26, 0xffff
	v_mad_u32_u24 v9, v2, s33, v1
	v_mad_u64_u32 v[3:4], s[0:1], v9, s9, v[0:1]
	s_and_b32 s36, s27, 0xffff
	s_mul_i32 s10, s33, s9
	s_mul_i32 s10, s10, s36
	v_cmp_gt_i32_e32 vcc, s15, v3
	s_and_saveexec_b64 s[2:3], vcc
	s_cbranch_execz .LBB11_3
; %bb.1:
	s_abs_i32 s11, s15
	v_cvt_f32_u32_e32 v4, s11
	s_sub_i32 s4, 0, s11
	s_mul_i32 s1, s17, s33
	s_add_i32 s0, s15, s17
	v_rcp_iflag_f32_e32 v5, v4
	v_mul_lo_u32 v4, s17, v3
	s_mul_i32 s37, s1, s9
	s_ashr_i32 s26, s15, 31
	v_mul_f32_e32 v5, 0x4f7ffffe, v5
	v_cvt_u32_f32_e32 v7, v5
	s_mov_b32 s27, 0
	v_lshl_add_u32 v5, v3, 2, 0
	s_lshl_b32 s34, s10, 2
	v_mul_lo_u32 v6, s4, v7
	s_lshl_b32 s35, s15, 2
	s_mov_b64 s[4:5], 0
	s_mul_i32 s37, s37, s36
	v_mul_hi_u32 v8, v7, v6
	v_add3_u32 v6, s0, v4, -1
	v_add_u32_e32 v7, v7, v8
	v_mov_b32_e32 v8, v3
.LBB11_2:                               ; =>This Inner Loop Header: Depth=1
	v_add_u32_e32 v10, s27, v4
	v_add_u32_e32 v11, s27, v6
	v_sub_u32_e32 v14, 0, v10
	v_ashrrev_i32_e32 v13, 31, v10
	v_ashrrev_i32_e32 v15, 31, v11
	v_sub_u32_e32 v16, 0, v11
	v_max_i32_e32 v10, v10, v14
	v_xor_b32_e32 v14, s26, v15
	v_max_i32_e32 v11, v11, v16
	v_mul_hi_u32 v15, v10, v7
	v_mul_hi_u32 v16, v11, v7
	v_add_u32_e32 v8, s10, v8
	s_add_i32 s27, s27, s37
	v_mul_lo_u32 v17, v15, s11
	v_mul_lo_u32 v18, v16, s11
	v_cmp_le_i32_e32 vcc, s15, v8
	s_or_b64 s[4:5], vcc, s[4:5]
	v_sub_u32_e32 v10, v10, v17
	v_add_u32_e32 v19, 1, v15
	v_sub_u32_e32 v11, v11, v18
	v_cmp_le_u32_e32 vcc, s11, v10
	v_subrev_u32_e32 v17, s11, v10
	v_add_u32_e32 v20, 1, v16
	v_cndmask_b32_e32 v15, v15, v19, vcc
	v_cmp_le_u32_e64 s[0:1], s11, v11
	v_subrev_u32_e32 v18, s11, v11
	v_cndmask_b32_e32 v10, v10, v17, vcc
	v_cndmask_b32_e64 v16, v16, v20, s[0:1]
	v_add_u32_e32 v17, 1, v15
	v_cndmask_b32_e64 v11, v11, v18, s[0:1]
	v_cmp_le_u32_e32 vcc, s11, v10
	v_xor_b32_e32 v13, s26, v13
	v_add_u32_e32 v18, 1, v16
	v_cndmask_b32_e32 v10, v15, v17, vcc
	v_cmp_le_u32_e32 vcc, s11, v11
	v_cndmask_b32_e32 v11, v16, v18, vcc
	v_xor_b32_e32 v10, v10, v13
	v_xor_b32_e32 v11, v11, v14
	v_sub_u32_e32 v10, v10, v13
	v_add_u32_e32 v12, s35, v5
	v_sub_u32_e32 v11, v11, v14
	ds_write_b32 v5, v10
	ds_write_b32 v12, v11
	v_add_u32_e32 v5, s34, v5
	s_andn2_b64 exec, exec, s[4:5]
	s_cbranch_execnz .LBB11_2
.LBB11_3:
	s_or_b64 exec, exec, s[2:3]
	v_cvt_f32_u32_e32 v4, s10
	v_cmp_gt_i32_e32 vcc, s16, v3
	v_rcp_iflag_f32_e32 v10, v4
	v_add_u32_e32 v4, s36, v2
	v_mad_u32_u24 v11, v4, s33, v1
	s_and_saveexec_b64 s[2:3], vcc
	s_cbranch_execz .LBB11_13
; %bb.4:
	v_mul_f32_e32 v4, 0x4f7ffffe, v10
	v_cvt_u32_f32_e32 v4, v4
	s_sub_i32 s0, 0, s10
	v_mul_lo_u32 v5, v11, s9
	s_mov_b64 s[4:5], 0
	v_mul_lo_u32 v6, s0, v4
                                        ; implicit-def: $vgpr16
                                        ; implicit-def: $vgpr15
                                        ; implicit-def: $vgpr13
	v_add_u32_e32 v7, v0, v5
	v_cmp_gt_i32_e32 vcc, s16, v7
	v_mul_hi_u32 v6, v4, v6
	v_max_i32_e32 v8, s16, v7
	v_addc_co_u32_e64 v5, s[0:1], v0, v5, vcc
	v_sub_u32_e32 v5, v8, v5
	v_add_u32_e32 v4, v4, v6
	v_mul_hi_u32 v4, v5, v4
                                        ; implicit-def: $vgpr8
	v_mul_lo_u32 v6, v4, s10
	v_add_u32_e32 v7, 1, v4
	v_sub_u32_e32 v5, v5, v6
	v_cmp_le_u32_e64 s[0:1], s10, v5
	v_subrev_u32_e32 v6, s10, v5
	v_cndmask_b32_e64 v4, v4, v7, s[0:1]
	v_cndmask_b32_e64 v5, v5, v6, s[0:1]
	v_add_u32_e32 v6, 1, v4
	v_cmp_le_u32_e64 s[0:1], s10, v5
	v_cndmask_b32_e64 v4, v4, v6, s[0:1]
	v_addc_co_u32_e32 v12, vcc, 1, v4, vcc
	v_cmp_lt_u32_e32 vcc, 1, v12
                                        ; implicit-def: $vgpr7
                                        ; implicit-def: $vgpr4
                                        ; implicit-def: $vgpr5_vgpr6
	s_and_saveexec_b64 s[0:1], vcc
	s_xor_b64 s[0:1], exec, s[0:1]
	s_cbranch_execnz .LBB11_7
; %bb.5:
	s_andn2_saveexec_b64 s[0:1], s[0:1]
	s_cbranch_execnz .LBB11_10
.LBB11_6:
	s_or_b64 exec, exec, s[0:1]
	s_and_b64 exec, exec, s[4:5]
	s_cbranch_execnz .LBB11_11
	s_branch .LBB11_13
.LBB11_7:
	s_abs_i32 s11, s16
	v_cvt_f32_u32_e32 v4, s11
	s_sub_i32 s4, 0, s11
	s_lshl_b32 s37, s15, 3
	s_lshl_b32 s38, s17, 1
	v_rcp_iflag_f32_e32 v5, v4
	v_add_u32_e32 v4, s10, v3
	s_add_i32 s42, s16, -1
	v_and_b32_e32 v13, -2, v12
	v_mul_f32_e32 v5, 0x4f7ffffe, v5
	v_cvt_u32_f32_e32 v5, v5
	s_lshl_b32 s27, s10, 1
	s_mov_b32 s34, s14
	s_mov_b32 s35, s14
	v_mul_lo_u32 v7, s4, v5
	s_add_i32 s4, s37, s38
	s_add_i32 s4, s4, 0
	s_ashr_i32 s26, s16, 31
	v_mul_hi_u32 v7, v5, v7
	v_mov_b32_e32 v6, 0
	s_mov_b32 s39, s27
	v_lshl_add_u32 v14, v3, 1, s4
	v_add_u32_e32 v5, v5, v7
	v_mov_b32_e32 v8, v4
	s_lshl_b32 s40, s10, 2
	s_mov_b64 s[4:5], 0
	s_add_i32 s41, s42, s14
	s_add_i32 s42, s42, s14
	s_movk_i32 s43, 0x7fff
	v_mov_b32_e32 v15, 0x7fc0
	v_mov_b32_e32 v16, 1
	;; [unrolled: 1-line block ×4, first 2 shown]
.LBB11_8:                               ; =>This Inner Loop Header: Depth=1
	v_mul_lo_u32 v21, v7, s34
	v_mul_lo_u32 v20, v8, s35
	v_add_u32_e32 v17, -2, v17
	v_add_u32_e32 v8, s39, v8
	v_add_u32_e32 v4, s42, v21
	v_sub_u32_e32 v22, 0, v4
	v_ashrrev_i32_e32 v19, 31, v4
	v_max_i32_e32 v4, v4, v22
	v_mul_hi_u32 v22, v4, v5
	v_add_u32_e32 v18, s41, v20
	v_xor_b32_e32 v19, s26, v19
	v_add_u32_e32 v7, s27, v7
	v_mul_lo_u32 v23, v22, s11
	v_sub_u32_e32 v4, v4, v23
	v_cmp_le_u32_e32 vcc, s11, v4
	v_add_u32_e32 v23, 1, v22
	v_cndmask_b32_e32 v22, v22, v23, vcc
	v_subrev_u32_e32 v23, s11, v4
	v_cndmask_b32_e32 v4, v4, v23, vcc
	v_cmp_le_u32_e32 vcc, s11, v4
	v_add_u32_e32 v4, 1, v22
	v_cndmask_b32_e32 v4, v22, v4, vcc
	v_xor_b32_e32 v4, v4, v19
	v_sub_u32_e32 v22, 0, v18
	v_sub_u32_e32 v4, v4, v19
	v_ashrrev_i32_e32 v19, 31, v18
	v_max_i32_e32 v18, v18, v22
	v_mul_hi_u32 v22, v18, v5
	v_xor_b32_e32 v19, s26, v19
	v_mul_lo_u32 v23, v22, s11
	v_sub_u32_e32 v18, v18, v23
	v_cmp_le_u32_e32 vcc, s11, v18
	v_add_u32_e32 v23, 1, v22
	v_cndmask_b32_e32 v22, v22, v23, vcc
	v_subrev_u32_e32 v23, s11, v18
	v_cndmask_b32_e32 v18, v18, v23, vcc
	v_cmp_le_u32_e32 vcc, s11, v18
	v_add_u32_e32 v18, 1, v22
	v_cndmask_b32_e32 v18, v22, v18, vcc
	v_xor_b32_e32 v18, v18, v19
	v_sub_u32_e32 v22, 0, v21
	v_sub_u32_e32 v18, v18, v19
	v_ashrrev_i32_e32 v19, 31, v21
	v_max_i32_e32 v21, v21, v22
	v_mul_hi_u32 v22, v21, v5
	v_xor_b32_e32 v19, s26, v19
	v_mul_lo_u32 v23, v22, s11
	v_sub_u32_e32 v21, v21, v23
	v_cmp_le_u32_e32 vcc, s11, v21
	v_add_u32_e32 v23, 1, v22
	v_cndmask_b32_e32 v22, v22, v23, vcc
	v_subrev_u32_e32 v23, s11, v21
	v_cndmask_b32_e32 v21, v21, v23, vcc
	v_cmp_le_u32_e32 vcc, s11, v21
	v_add_u32_e32 v21, 1, v22
	v_sub_u32_e32 v23, 0, v20
	v_cndmask_b32_e32 v21, v22, v21, vcc
	v_ashrrev_i32_e32 v22, 31, v20
	v_max_i32_e32 v20, v20, v23
	v_mul_hi_u32 v23, v20, v5
	v_xor_b32_e32 v21, v21, v19
	v_xor_b32_e32 v22, s26, v22
	v_sub_u32_e32 v19, v19, v21
	v_mul_lo_u32 v24, v23, s11
	v_add_u32_e32 v4, v4, v19
	v_cvt_f32_i32_e32 v4, v4
	v_sub_u32_e32 v20, v20, v24
	v_cmp_le_u32_e32 vcc, s11, v20
	v_add_u32_e32 v24, 1, v23
	v_cndmask_b32_e32 v23, v23, v24, vcc
	v_subrev_u32_e32 v24, s11, v20
	v_cndmask_b32_e32 v20, v20, v24, vcc
	v_cmp_le_u32_e32 vcc, s11, v20
	v_add_u32_e32 v20, 1, v23
	v_cndmask_b32_e32 v20, v23, v20, vcc
	v_xor_b32_e32 v20, v20, v22
	v_sub_u32_e32 v20, v22, v20
	v_add_u32_e32 v18, v18, v20
	v_cvt_f32_i32_e32 v18, v18
	v_and_b32_sdwa v20, v4, v16 dst_sel:DWORD dst_unused:UNUSED_PAD src0_sel:WORD_1 src1_sel:DWORD
	v_add3_u32 v4, v4, v20, s43
	v_and_b32_e32 v4, 0xffff0000, v4
	v_and_b32_sdwa v19, v18, v16 dst_sel:DWORD dst_unused:UNUSED_PAD src0_sel:WORD_1 src1_sel:DWORD
	v_add3_u32 v18, v18, v19, s43
	v_div_scale_f32 v19, s[44:45], v4, v4, 1.0
	v_and_b32_e32 v18, 0xffff0000, v18
	v_rcp_f32_e32 v20, v19
	v_fma_f32 v21, -v19, v20, 1.0
	v_fmac_f32_e32 v20, v21, v20
	v_div_scale_f32 v21, vcc, 1.0, v4, 1.0
	v_mul_f32_e32 v22, v21, v20
	v_fma_f32 v23, -v19, v22, v21
	v_fmac_f32_e32 v22, v23, v20
	v_fma_f32 v19, -v19, v22, v21
	v_div_fmas_f32 v19, v19, v20, v22
	v_div_fixup_f32 v4, v19, v4, 1.0
	v_div_scale_f32 v19, s[44:45], v18, v18, 1.0
	v_rcp_f32_e32 v20, v19
	v_fma_f32 v21, -v19, v20, 1.0
	v_fmac_f32_e32 v20, v21, v20
	v_div_scale_f32 v21, vcc, 1.0, v18, 1.0
	v_mul_f32_e32 v22, v21, v20
	v_fma_f32 v23, -v19, v22, v21
	v_fmac_f32_e32 v22, v23, v20
	v_fma_f32 v19, -v19, v22, v21
	v_div_fmas_f32 v19, v19, v20, v22
	v_and_b32_sdwa v20, v4, v16 dst_sel:DWORD dst_unused:UNUSED_PAD src0_sel:WORD_1 src1_sel:DWORD
	v_add3_u32 v20, v4, v20, s43
	v_lshrrev_b32_e32 v20, 16, v20
	v_div_fixup_f32 v18, v19, v18, 1.0
	v_and_b32_sdwa v19, v18, v16 dst_sel:DWORD dst_unused:UNUSED_PAD src0_sel:WORD_1 src1_sel:DWORD
	v_add3_u32 v19, v18, v19, s43
	v_lshrrev_b32_e32 v19, 16, v19
	v_cmp_o_f32_e32 vcc, v18, v18
	v_cndmask_b32_e32 v18, v15, v19, vcc
	v_cmp_o_f32_e32 vcc, v4, v4
	v_cndmask_b32_e32 v4, v15, v20, vcc
	v_cmp_eq_u32_e32 vcc, 0, v17
	v_add_u32_e32 v19, s27, v14
	ds_write_b16 v14, v4
	ds_write_b16 v19, v18
	v_add_u32_e32 v14, s40, v14
	s_or_b64 s[4:5], vcc, s[4:5]
	s_andn2_b64 exec, exec, s[4:5]
	s_cbranch_execnz .LBB11_8
; %bb.9:
	s_or_b64 exec, exec, s[4:5]
	v_mad_u64_u32 v[7:8], s[4:5], v13, s10, v[3:4]
	v_cmp_ne_u32_e32 vcc, v12, v13
	v_mov_b32_e32 v13, s27
	v_mov_b32_e32 v15, s38
	;; [unrolled: 1-line block ×5, first 2 shown]
	s_and_b64 s[4:5], vcc, exec
	s_andn2_saveexec_b64 s[0:1], s[0:1]
	s_cbranch_execz .LBB11_6
.LBB11_10:
	s_abs_i32 s11, s16
	v_cvt_f32_u32_e32 v4, s11
	s_sub_i32 s37, 0, s11
	s_ashr_i32 s26, s16, 31
	s_lshl_b32 s27, s15, 3
	v_rcp_iflag_f32_e32 v4, v4
	s_lshl_b32 s34, s17, 1
	s_lshl_b32 s35, s10, 1
	v_mov_b32_e32 v6, 0
	v_mul_f32_e32 v4, 0x4f7ffffe, v4
	v_cvt_u32_f32_e32 v5, v4
	s_or_b64 s[4:5], s[4:5], exec
	v_mov_b32_e32 v4, s26
	v_mov_b32_e32 v8, s11
	v_mul_lo_u32 v7, s37, v5
	v_mov_b32_e32 v16, s27
	v_mov_b32_e32 v15, s34
	;; [unrolled: 1-line block ×3, first 2 shown]
	v_mul_hi_u32 v7, v5, v7
	v_add_u32_e32 v5, v5, v7
	v_mov_b32_e32 v7, v3
	s_or_b64 exec, exec, s[0:1]
	s_and_b64 exec, exec, s[4:5]
	s_cbranch_execz .LBB11_13
.LBB11_11:
	v_mul_lo_u32 v12, v7, s14
	s_mul_i32 s0, s14, s33
	s_mul_i32 s11, s0, s9
	s_add_i32 s0, s16, s14
	v_lshl_add_u32 v16, v7, 1, v16
	s_mul_i32 s11, s11, s36
	v_add3_u32 v14, s0, v12, -1
	s_mov_b32 s26, 0
	v_add3_u32 v15, v16, v15, 0
	s_mov_b64 s[4:5], 0
	s_movk_i32 s27, 0x7fff
	v_mov_b32_e32 v16, 0x7fc0
.LBB11_12:                              ; =>This Inner Loop Header: Depth=1
	v_add_u32_e32 v17, s26, v14
	v_add_u32_e32 v18, s26, v12
	v_sub_u32_e32 v20, 0, v17
	v_sub_u32_e32 v22, 0, v18
	v_max_i32_e32 v24, v17, v20
	v_max_i32_e32 v22, v18, v22
	v_ashrrev_i32_e32 v19, 31, v17
	v_ashrrev_i32_e32 v21, 31, v18
	v_mul_hi_u32 v17, v24, v5
	v_mul_hi_u32 v18, v22, v5
	v_xor_b32_e32 v23, v19, v4
	v_xor_b32_e32 v21, v21, v4
	v_add_u32_e32 v7, s10, v7
	v_mad_u64_u32 v[19:20], s[0:1], v24, v6, v[17:18]
	s_add_i32 s26, s26, s11
	v_mad_u64_u32 v[17:18], s[0:1], v22, v6, v[18:19]
	v_mul_lo_u32 v18, v19, v8
	v_add_u32_e32 v25, 1, v19
	v_mul_lo_u32 v20, v17, v8
	v_add_u32_e32 v26, 1, v17
	v_sub_u32_e32 v18, v24, v18
	v_cmp_ge_u32_e32 vcc, v18, v8
	v_sub_u32_e32 v20, v22, v20
	v_sub_u32_e32 v22, v18, v8
	v_cndmask_b32_e32 v19, v19, v25, vcc
	v_cmp_ge_u32_e64 s[0:1], v20, v8
	v_sub_u32_e32 v24, v20, v8
	v_cndmask_b32_e32 v18, v18, v22, vcc
	v_cndmask_b32_e64 v17, v17, v26, s[0:1]
	v_add_u32_e32 v22, 1, v19
	v_cndmask_b32_e64 v20, v20, v24, s[0:1]
	v_cmp_ge_u32_e32 vcc, v18, v8
	v_add_u32_e32 v24, 1, v17
	v_cndmask_b32_e32 v18, v19, v22, vcc
	v_cmp_ge_u32_e32 vcc, v20, v8
	v_cndmask_b32_e32 v17, v17, v24, vcc
	v_xor_b32_e32 v18, v18, v23
	v_xor_b32_e32 v17, v17, v21
	v_sub_u32_e32 v18, v18, v23
	v_sub_u32_e32 v17, v21, v17
	v_add_u32_e32 v17, v18, v17
	v_cvt_f32_i32_e32 v17, v17
	v_bfe_u32 v18, v17, 16, 1
	v_add3_u32 v17, v17, v18, s27
	v_and_b32_e32 v17, 0xffff0000, v17
	v_div_scale_f32 v18, s[0:1], v17, v17, 1.0
	v_div_scale_f32 v19, vcc, 1.0, v17, 1.0
	v_rcp_f32_e32 v20, v18
	v_fma_f32 v21, -v18, v20, 1.0
	v_fmac_f32_e32 v20, v21, v20
	v_mul_f32_e32 v21, v19, v20
	v_fma_f32 v22, -v18, v21, v19
	v_fmac_f32_e32 v21, v22, v20
	v_fma_f32 v18, -v18, v21, v19
	v_div_fmas_f32 v18, v18, v20, v21
	v_cmp_le_i32_e32 vcc, s16, v7
	s_or_b64 s[4:5], vcc, s[4:5]
	v_div_fixup_f32 v17, v18, v17, 1.0
	v_bfe_u32 v18, v17, 16, 1
	v_cmp_o_f32_e32 vcc, v17, v17
	v_add3_u32 v17, v17, v18, s27
	v_cndmask_b32_sdwa v17, v16, v17, vcc dst_sel:DWORD dst_unused:UNUSED_PAD src0_sel:DWORD src1_sel:WORD_1
	ds_write_b16 v15, v17
	v_add_u32_e32 v15, v15, v13
	s_andn2_b64 exec, exec, s[4:5]
	s_cbranch_execnz .LBB11_12
.LBB11_13:
	s_or_b64 exec, exec, s[2:3]
	v_cmp_gt_i32_e32 vcc, s17, v3
	s_and_saveexec_b64 s[2:3], vcc
	s_cbranch_execz .LBB11_23
; %bb.14:
	v_mul_f32_e32 v4, 0x4f7ffffe, v10
	v_cvt_u32_f32_e32 v4, v4
	s_sub_i32 s0, 0, s10
	v_mul_lo_u32 v5, v11, s9
	s_mov_b64 s[4:5], 0
	v_mul_lo_u32 v6, s0, v4
                                        ; implicit-def: $vgpr13
                                        ; implicit-def: $vgpr11
	v_add_u32_e32 v7, v0, v5
	v_cmp_gt_i32_e32 vcc, s17, v7
	v_mul_hi_u32 v6, v4, v6
	v_max_i32_e32 v8, s17, v7
	v_addc_co_u32_e64 v5, s[0:1], v0, v5, vcc
	v_sub_u32_e32 v5, v8, v5
	v_add_u32_e32 v4, v4, v6
	v_mul_hi_u32 v4, v5, v4
                                        ; implicit-def: $vgpr8
	v_mul_lo_u32 v6, v4, s10
	v_add_u32_e32 v7, 1, v4
	v_sub_u32_e32 v5, v5, v6
	v_cmp_le_u32_e64 s[0:1], s10, v5
	v_subrev_u32_e32 v6, s10, v5
	v_cndmask_b32_e64 v4, v4, v7, s[0:1]
	v_cndmask_b32_e64 v5, v5, v6, s[0:1]
	v_add_u32_e32 v6, 1, v4
	v_cmp_le_u32_e64 s[0:1], s10, v5
	v_cndmask_b32_e64 v4, v4, v6, s[0:1]
	v_addc_co_u32_e32 v10, vcc, 1, v4, vcc
	v_cmp_lt_u32_e32 vcc, 1, v10
                                        ; implicit-def: $vgpr7
                                        ; implicit-def: $vgpr4
                                        ; implicit-def: $vgpr5_vgpr6
	s_and_saveexec_b64 s[0:1], vcc
	s_xor_b64 s[0:1], exec, s[0:1]
	s_cbranch_execnz .LBB11_17
; %bb.15:
	s_andn2_saveexec_b64 s[0:1], s[0:1]
	s_cbranch_execnz .LBB11_20
.LBB11_16:
	s_or_b64 exec, exec, s[0:1]
	s_and_b64 exec, exec, s[4:5]
	s_cbranch_execnz .LBB11_21
	s_branch .LBB11_23
.LBB11_17:
	s_abs_i32 s11, s17
	v_cvt_f32_u32_e32 v4, s11
	s_sub_i32 s4, 0, s11
	s_lshl_b32 s37, s15, 3
	s_add_i32 s41, s17, -1
	v_rcp_iflag_f32_e32 v5, v4
	v_add_u32_e32 v4, s10, v3
	v_and_b32_e32 v11, -2, v10
	s_lshl_b32 s27, s10, 1
	v_mul_f32_e32 v5, 0x4f7ffffe, v5
	v_cvt_u32_f32_e32 v5, v5
	s_mov_b32 s34, s15
	s_mov_b32 s35, s15
	s_ashr_i32 s26, s17, 31
	v_mul_lo_u32 v7, s4, v5
	s_add_i32 s4, s37, 0
	v_mov_b32_e32 v6, 0
	s_lshl_b32 s38, s10, 2
	v_mul_hi_u32 v7, v5, v7
	s_mov_b32 s39, s27
	v_lshl_add_u32 v12, v3, 1, s4
	s_mov_b64 s[4:5], 0
	v_add_u32_e32 v5, v5, v7
	v_mov_b32_e32 v8, v4
	s_add_i32 s40, s41, s15
	s_add_i32 s41, s41, s15
	s_movk_i32 s42, 0x7fff
	v_mov_b32_e32 v13, 0x7fc0
	v_mov_b32_e32 v14, 1
	;; [unrolled: 1-line block ×4, first 2 shown]
.LBB11_18:                              ; =>This Inner Loop Header: Depth=1
	v_mul_lo_u32 v19, v7, s34
	v_mul_lo_u32 v17, v8, s35
	v_add_u32_e32 v15, -2, v15
	v_add_u32_e32 v8, s39, v8
	v_add_u32_e32 v4, s41, v19
	v_sub_u32_e32 v20, 0, v4
	v_ashrrev_i32_e32 v18, 31, v4
	v_max_i32_e32 v4, v4, v20
	v_mul_hi_u32 v20, v4, v5
	v_add_u32_e32 v16, s40, v17
	v_xor_b32_e32 v18, s26, v18
	v_add_u32_e32 v7, s27, v7
	v_mul_lo_u32 v21, v20, s11
	v_sub_u32_e32 v4, v4, v21
	v_cmp_le_u32_e32 vcc, s11, v4
	v_add_u32_e32 v21, 1, v20
	v_cndmask_b32_e32 v20, v20, v21, vcc
	v_subrev_u32_e32 v21, s11, v4
	v_cndmask_b32_e32 v4, v4, v21, vcc
	v_cmp_le_u32_e32 vcc, s11, v4
	v_add_u32_e32 v4, 1, v20
	v_cndmask_b32_e32 v4, v20, v4, vcc
	v_xor_b32_e32 v4, v4, v18
	v_sub_u32_e32 v20, 0, v16
	v_sub_u32_e32 v4, v4, v18
	v_ashrrev_i32_e32 v18, 31, v16
	v_max_i32_e32 v16, v16, v20
	v_mul_hi_u32 v20, v16, v5
	v_xor_b32_e32 v18, s26, v18
	v_mul_lo_u32 v21, v20, s11
	v_sub_u32_e32 v16, v16, v21
	v_cmp_le_u32_e32 vcc, s11, v16
	v_add_u32_e32 v21, 1, v20
	v_cndmask_b32_e32 v20, v20, v21, vcc
	v_subrev_u32_e32 v21, s11, v16
	v_cndmask_b32_e32 v16, v16, v21, vcc
	v_cmp_le_u32_e32 vcc, s11, v16
	v_add_u32_e32 v16, 1, v20
	v_cndmask_b32_e32 v16, v20, v16, vcc
	v_xor_b32_e32 v16, v16, v18
	v_sub_u32_e32 v20, 0, v19
	v_sub_u32_e32 v16, v16, v18
	v_ashrrev_i32_e32 v18, 31, v19
	v_max_i32_e32 v19, v19, v20
	v_mul_hi_u32 v20, v19, v5
	v_xor_b32_e32 v18, s26, v18
	v_mul_lo_u32 v21, v20, s11
	v_sub_u32_e32 v19, v19, v21
	v_cmp_le_u32_e32 vcc, s11, v19
	v_add_u32_e32 v21, 1, v20
	v_cndmask_b32_e32 v20, v20, v21, vcc
	v_subrev_u32_e32 v21, s11, v19
	v_cndmask_b32_e32 v19, v19, v21, vcc
	v_cmp_le_u32_e32 vcc, s11, v19
	v_add_u32_e32 v19, 1, v20
	v_sub_u32_e32 v21, 0, v17
	v_cndmask_b32_e32 v19, v20, v19, vcc
	v_ashrrev_i32_e32 v20, 31, v17
	v_max_i32_e32 v17, v17, v21
	v_mul_hi_u32 v21, v17, v5
	v_xor_b32_e32 v20, s26, v20
	v_xor_b32_e32 v19, v19, v18
	v_mul_lo_u32 v22, v21, s11
	v_sub_u32_e32 v17, v17, v22
	v_cmp_le_u32_e32 vcc, s11, v17
	v_add_u32_e32 v22, 1, v21
	v_cndmask_b32_e32 v21, v21, v22, vcc
	v_subrev_u32_e32 v22, s11, v17
	v_cndmask_b32_e32 v17, v17, v22, vcc
	v_cmp_le_u32_e32 vcc, s11, v17
	v_add_u32_e32 v17, 1, v21
	v_cndmask_b32_e32 v17, v21, v17, vcc
	v_xor_b32_e32 v17, v17, v20
	v_sub_u32_e32 v17, v20, v17
	v_add_u32_e32 v16, v16, v17
	v_sub_u32_e32 v17, v18, v19
	v_add_u32_e32 v4, v4, v17
	v_cvt_f32_i32_e32 v4, v4
	v_cvt_f32_i32_e32 v16, v16
	v_and_b32_sdwa v18, v4, v14 dst_sel:DWORD dst_unused:UNUSED_PAD src0_sel:WORD_1 src1_sel:DWORD
	v_add3_u32 v4, v4, v18, s42
	v_and_b32_sdwa v17, v16, v14 dst_sel:DWORD dst_unused:UNUSED_PAD src0_sel:WORD_1 src1_sel:DWORD
	v_and_b32_e32 v4, 0xffff0000, v4
	v_add3_u32 v16, v16, v17, s42
	v_div_scale_f32 v17, s[44:45], v4, v4, 1.0
	v_and_b32_e32 v16, 0xffff0000, v16
	v_rcp_f32_e32 v18, v17
	v_fma_f32 v19, -v17, v18, 1.0
	v_fmac_f32_e32 v18, v19, v18
	v_div_scale_f32 v19, vcc, 1.0, v4, 1.0
	v_mul_f32_e32 v20, v19, v18
	v_fma_f32 v21, -v17, v20, v19
	v_fmac_f32_e32 v20, v21, v18
	v_fma_f32 v17, -v17, v20, v19
	v_div_fmas_f32 v17, v17, v18, v20
	v_div_fixup_f32 v4, v17, v4, 1.0
	v_div_scale_f32 v17, s[44:45], v16, v16, 1.0
	v_rcp_f32_e32 v18, v17
	v_fma_f32 v19, -v17, v18, 1.0
	v_fmac_f32_e32 v18, v19, v18
	v_div_scale_f32 v19, vcc, 1.0, v16, 1.0
	v_mul_f32_e32 v20, v19, v18
	v_fma_f32 v21, -v17, v20, v19
	v_fmac_f32_e32 v20, v21, v18
	v_fma_f32 v17, -v17, v20, v19
	v_div_fmas_f32 v17, v17, v18, v20
	v_and_b32_sdwa v18, v4, v14 dst_sel:DWORD dst_unused:UNUSED_PAD src0_sel:WORD_1 src1_sel:DWORD
	v_add3_u32 v18, v4, v18, s42
	v_lshrrev_b32_e32 v18, 16, v18
	v_div_fixup_f32 v16, v17, v16, 1.0
	v_and_b32_sdwa v17, v16, v14 dst_sel:DWORD dst_unused:UNUSED_PAD src0_sel:WORD_1 src1_sel:DWORD
	v_add3_u32 v17, v16, v17, s42
	v_lshrrev_b32_e32 v17, 16, v17
	v_cmp_o_f32_e32 vcc, v16, v16
	v_cndmask_b32_e32 v16, v13, v17, vcc
	v_cmp_o_f32_e32 vcc, v4, v4
	v_cndmask_b32_e32 v4, v13, v18, vcc
	v_cmp_eq_u32_e32 vcc, 0, v15
	v_add_u32_e32 v17, s27, v12
	ds_write_b16 v12, v4
	ds_write_b16 v17, v16
	v_add_u32_e32 v12, s38, v12
	s_or_b64 s[4:5], vcc, s[4:5]
	s_andn2_b64 exec, exec, s[4:5]
	s_cbranch_execnz .LBB11_18
; %bb.19:
	s_or_b64 exec, exec, s[4:5]
	v_mad_u64_u32 v[7:8], s[4:5], v11, s10, v[3:4]
	v_cmp_ne_u32_e32 vcc, v10, v11
	v_mov_b32_e32 v11, s27
	v_mov_b32_e32 v13, s37
	;; [unrolled: 1-line block ×4, first 2 shown]
	s_and_b64 s[4:5], vcc, exec
	s_andn2_saveexec_b64 s[0:1], s[0:1]
	s_cbranch_execz .LBB11_16
.LBB11_20:
	s_abs_i32 s11, s17
	v_cvt_f32_u32_e32 v4, s11
	s_sub_i32 s34, 0, s11
	s_ashr_i32 s26, s17, 31
	s_lshl_b32 s27, s15, 3
	v_rcp_iflag_f32_e32 v4, v4
	v_mov_b32_e32 v6, 0
	s_or_b64 s[4:5], s[4:5], exec
	v_mov_b32_e32 v8, s11
	v_mul_f32_e32 v4, 0x4f7ffffe, v4
	v_cvt_u32_f32_e32 v5, v4
	v_mov_b32_e32 v4, s26
	v_mov_b32_e32 v13, s27
	v_mul_lo_u32 v7, s34, v5
	s_lshl_b32 s34, s10, 1
	v_mov_b32_e32 v11, s34
	v_mul_hi_u32 v7, v5, v7
	v_add_u32_e32 v5, v5, v7
	v_mov_b32_e32 v7, v3
	s_or_b64 exec, exec, s[0:1]
	s_and_b64 exec, exec, s[4:5]
	s_cbranch_execz .LBB11_23
.LBB11_21:
	v_mul_lo_u32 v10, v7, s15
	s_mul_i32 s0, s15, s33
	s_mul_i32 s11, s0, s9
	s_add_i32 s0, s17, s15
	v_lshlrev_b32_e32 v14, 1, v7
	s_mul_i32 s11, s11, s36
	v_add3_u32 v12, s0, v10, -1
	s_mov_b32 s26, 0
	v_add3_u32 v13, v13, v14, 0
	s_mov_b64 s[4:5], 0
	s_movk_i32 s27, 0x7fff
	v_mov_b32_e32 v14, 0x7fc0
.LBB11_22:                              ; =>This Inner Loop Header: Depth=1
	v_add_u32_e32 v15, s26, v12
	v_add_u32_e32 v16, s26, v10
	v_sub_u32_e32 v18, 0, v15
	v_sub_u32_e32 v20, 0, v16
	v_max_i32_e32 v22, v15, v18
	v_max_i32_e32 v20, v16, v20
	v_ashrrev_i32_e32 v17, 31, v15
	v_ashrrev_i32_e32 v19, 31, v16
	v_mul_hi_u32 v15, v22, v5
	v_mul_hi_u32 v16, v20, v5
	v_xor_b32_e32 v21, v17, v4
	v_xor_b32_e32 v19, v19, v4
	v_add_u32_e32 v7, s10, v7
	v_mad_u64_u32 v[17:18], s[0:1], v22, v6, v[15:16]
	s_add_i32 s26, s26, s11
	v_mad_u64_u32 v[15:16], s[0:1], v20, v6, v[16:17]
	v_mul_lo_u32 v16, v17, v8
	v_add_u32_e32 v23, 1, v17
	v_mul_lo_u32 v18, v15, v8
	v_add_u32_e32 v24, 1, v15
	v_sub_u32_e32 v16, v22, v16
	v_cmp_ge_u32_e32 vcc, v16, v8
	v_sub_u32_e32 v18, v20, v18
	v_sub_u32_e32 v20, v16, v8
	v_cndmask_b32_e32 v17, v17, v23, vcc
	v_cmp_ge_u32_e64 s[0:1], v18, v8
	v_sub_u32_e32 v22, v18, v8
	v_cndmask_b32_e32 v16, v16, v20, vcc
	v_cndmask_b32_e64 v15, v15, v24, s[0:1]
	v_add_u32_e32 v20, 1, v17
	v_cndmask_b32_e64 v18, v18, v22, s[0:1]
	v_cmp_ge_u32_e32 vcc, v16, v8
	v_add_u32_e32 v22, 1, v15
	v_cndmask_b32_e32 v16, v17, v20, vcc
	v_cmp_ge_u32_e32 vcc, v18, v8
	v_cndmask_b32_e32 v15, v15, v22, vcc
	v_xor_b32_e32 v16, v16, v21
	v_xor_b32_e32 v15, v15, v19
	v_sub_u32_e32 v16, v16, v21
	v_sub_u32_e32 v15, v19, v15
	v_add_u32_e32 v15, v16, v15
	v_cvt_f32_i32_e32 v15, v15
	v_bfe_u32 v16, v15, 16, 1
	v_add3_u32 v15, v15, v16, s27
	v_and_b32_e32 v15, 0xffff0000, v15
	v_div_scale_f32 v16, s[0:1], v15, v15, 1.0
	v_div_scale_f32 v17, vcc, 1.0, v15, 1.0
	v_rcp_f32_e32 v18, v16
	v_fma_f32 v19, -v16, v18, 1.0
	v_fmac_f32_e32 v18, v19, v18
	v_mul_f32_e32 v19, v17, v18
	v_fma_f32 v20, -v16, v19, v17
	v_fmac_f32_e32 v19, v20, v18
	v_fma_f32 v16, -v16, v19, v17
	v_div_fmas_f32 v16, v16, v18, v19
	v_cmp_le_i32_e32 vcc, s17, v7
	s_or_b64 s[4:5], vcc, s[4:5]
	v_div_fixup_f32 v15, v16, v15, 1.0
	v_bfe_u32 v16, v15, 16, 1
	v_cmp_o_f32_e32 vcc, v15, v15
	v_add3_u32 v15, v15, v16, s27
	v_cndmask_b32_sdwa v15, v14, v15, vcc dst_sel:DWORD dst_unused:UNUSED_PAD src0_sel:DWORD src1_sel:WORD_1
	ds_write_b16 v13, v15
	v_add_u32_e32 v13, v13, v11
	s_andn2_b64 exec, exec, s[4:5]
	s_cbranch_execnz .LBB11_22
.LBB11_23:
	s_or_b64 exec, exec, s[2:3]
	v_cvt_f32_u32_e32 v4, s12
	s_sub_i32 s0, 0, s12
	s_mul_i32 s4, s10, s19
	v_cmp_gt_u32_e32 vcc, s4, v3
	v_rcp_iflag_f32_e32 v4, v4
	v_mul_f32_e32 v4, 0x4f7ffffe, v4
	v_cvt_u32_f32_e32 v4, v4
	v_readfirstlane_b32 s1, v4
	s_mul_i32 s0, s0, s1
	s_mul_hi_u32 s0, s1, s0
	s_add_i32 s1, s1, s0
	s_mul_hi_u32 s5, s6, s1
	s_and_saveexec_b64 s[0:1], vcc
	s_cbranch_execz .LBB11_26
; %bb.24:
	s_lshl_b32 s2, s15, 3
	s_lshl_b32 s3, s17, 1
	s_add_i32 s2, s2, s3
	s_lshl_b32 s3, s16, 1
	s_add_i32 s2, s2, s3
	s_add_i32 s2, s2, 0
	v_lshl_add_u32 v4, v3, 1, s2
	s_lshl_b32 s11, s10, 1
	s_mov_b64 s[2:3], 0
	v_mov_b32_e32 v5, 0
.LBB11_25:                              ; =>This Inner Loop Header: Depth=1
	v_add_u32_e32 v3, s10, v3
	v_cmp_le_u32_e32 vcc, s4, v3
	ds_write_b16 v4, v5
	s_or_b64 s[2:3], vcc, s[2:3]
	v_add_u32_e32 v4, s11, v4
	s_andn2_b64 exec, exec, s[2:3]
	s_cbranch_execnz .LBB11_25
.LBB11_26:
	s_or_b64 exec, exec, s[0:1]
	v_cvt_f32_u32_e32 v3, s25
	s_sub_i32 s0, 0, s25
	s_add_i32 s4, s14, -1
	v_cvt_f32_u32_e32 v4, s24
	v_rcp_iflag_f32_e32 v3, v3
	s_add_i32 s1, s4, s25
	s_waitcnt lgkmcnt(0)
	v_rcp_iflag_f32_e32 v4, v4
	v_mul_f32_e32 v3, 0x4f7ffffe, v3
	v_cvt_u32_f32_e32 v3, v3
	s_barrier
	v_readfirstlane_b32 s2, v3
	s_mul_i32 s0, s0, s2
	s_mul_hi_u32 s0, s2, s0
	s_add_i32 s2, s2, s0
	s_mul_hi_u32 s0, s1, s2
	s_mul_i32 s2, s0, s25
	s_sub_i32 s1, s1, s2
	s_add_i32 s3, s0, 1
	s_sub_i32 s2, s1, s25
	s_cmp_ge_u32 s1, s25
	s_cselect_b32 s0, s3, s0
	s_cselect_b32 s1, s2, s1
	v_mul_f32_e32 v3, 0x4f7ffffe, v4
	s_add_i32 s2, s0, 1
	v_cvt_u32_f32_e32 v3, v3
	s_cmp_ge_u32 s1, s25
	s_cselect_b32 s1, s2, s0
	s_mul_i32 s2, s1, s8
	v_add_u32_e32 v2, s2, v2
	v_readfirstlane_b32 s0, v3
	v_add_u32_e32 v3, s1, v2
	v_min_i32_e32 v3, s14, v3
	v_cmp_lt_i32_e32 vcc, v2, v3
	s_and_saveexec_b64 s[2:3], vcc
	s_cbranch_execz .LBB11_44
; %bb.27:
	s_add_i32 s1, s15, s24
	s_add_i32 s2, s1, -1
	s_sub_i32 s1, 0, s24
	s_mul_i32 s1, s1, s0
	s_mul_hi_u32 s1, s0, s1
	s_add_i32 s0, s0, s1
	s_mul_hi_u32 s3, s2, s0
	s_mul_i32 s0, s5, s12
	s_sub_i32 s0, s6, s0
	s_add_i32 s1, s5, 1
	s_sub_i32 s8, s0, s12
	s_cmp_ge_u32 s0, s12
	s_cselect_b32 s1, s1, s5
	s_cselect_b32 s0, s8, s0
	s_add_i32 s5, s1, 1
	s_cmp_ge_u32 s0, s12
	s_cselect_b32 s5, s5, s1
	s_mul_i32 s0, s5, s12
	s_sub_i32 s6, s6, s0
	s_mul_i32 s0, s14, s13
	s_mul_i32 s0, s0, s15
	;; [unrolled: 1-line block ×3, first 2 shown]
	s_ashr_i32 s1, s0, 31
	s_lshl_b64 s[0:1], s[0:1], 1
	s_add_u32 s12, s28, s0
	s_mul_i32 s0, s6, s20
	s_addc_u32 s37, s29, s1
	s_ashr_i32 s1, s0, 31
	s_lshl_b64 s[0:1], s[0:1], 1
	s_add_u32 s38, s30, s0
	s_mul_i32 s0, s3, s24
	s_addc_u32 s39, s31, s1
	s_sub_i32 s0, s2, s0
	s_add_i32 s1, s3, 1
	s_sub_i32 s2, s0, s24
	s_cmp_ge_u32 s0, s24
	s_cselect_b32 s1, s1, s3
	s_cselect_b32 s0, s2, s0
	s_add_i32 s2, s1, 1
	s_cmp_ge_u32 s0, s24
	s_cselect_b32 s0, s2, s1
	s_mul_i32 s1, s0, s7
	s_abs_i32 s40, s14
	v_add_u32_e32 v4, s1, v1
	v_cvt_f32_u32_e32 v1, s40
	v_add_u32_e32 v5, s0, v4
	s_lshl_b32 s0, s15, 2
	s_add_i32 s41, s0, 0
	v_rcp_iflag_f32_e32 v1, v1
	s_add_i32 s42, s41, s0
	s_sub_i32 s0, 0, s40
	v_mul_lo_u32 v8, s19, v9
	v_mul_f32_e32 v1, 0x4f7ffffe, v1
	v_cvt_u32_f32_e32 v1, v1
	s_mul_i32 s5, s5, s9
	v_add_u32_e32 v6, s5, v0
	s_add_i32 s44, s16, s4
	v_mul_lo_u32 v7, s0, v1
	s_lshl_b32 s4, s15, 3
	s_lshl_b32 s5, s17, 1
	v_min_i32_e32 v5, s15, v5
	v_mul_hi_u32 v7, v1, v7
	s_mul_i32 s43, s18, s9
	v_lshlrev_b32_e32 v0, 1, v0
	s_add_i32 s17, s42, s5
	v_add_u32_e32 v7, v1, v7
	v_mul_lo_u32 v1, v8, s9
	v_mul_lo_u32 v8, s21, v6
	v_cmp_lt_i32_e64 s[0:1], v4, v5
	v_cmp_gt_i32_e64 s[2:3], s13, v6
	v_lshl_add_u32 v1, v1, 1, s4
	s_lshl_b32 s4, s16, 1
	s_add_i32 s4, s4, 0
	s_add_i32 s4, s4, s5
	s_ashr_i32 s14, s14, 31
	s_mul_i32 s45, s43, s21
	v_add3_u32 v9, v1, v0, s4
	s_lshl_b32 s46, s9, 1
	s_mov_b64 s[8:9], 0
	s_movk_i32 s47, 0x7fff
	v_mov_b32_e32 v10, 0x7fc00000
	s_branch .LBB11_29
.LBB11_28:                              ;   in Loop: Header=BB11_29 Depth=1
	s_or_b64 exec, exec, s[10:11]
	v_add_u32_e32 v2, s36, v2
	v_cmp_ge_i32_e32 vcc, v2, v3
	s_or_b64 s[8:9], vcc, s[8:9]
	s_andn2_b64 exec, exec, s[8:9]
	s_cbranch_execz .LBB11_44
.LBB11_29:                              ; =>This Loop Header: Depth=1
                                        ;     Child Loop BB11_32 Depth 2
                                        ;       Child Loop BB11_35 Depth 3
                                        ;         Child Loop BB11_38 Depth 4
                                        ;           Child Loop BB11_40 Depth 5
                                        ;       Child Loop BB11_43 Depth 3
	s_and_saveexec_b64 s[10:11], s[0:1]
	s_cbranch_execz .LBB11_28
; %bb.30:                               ;   in Loop: Header=BB11_29 Depth=1
	v_mul_lo_u32 v0, v2, s16
	s_mov_b64 s[18:19], 0
	v_sub_u32_e32 v1, 0, v0
	v_max_i32_e32 v1, v0, v1
	v_mul_hi_u32 v11, v1, v7
	v_ashrrev_i32_e32 v12, 31, v0
	v_add_u32_e32 v0, s44, v0
	v_sub_u32_e32 v14, 0, v0
	v_mul_lo_u32 v13, v11, s40
	v_max_i32_e32 v14, v0, v14
	v_add_u32_e32 v15, 1, v11
	v_xor_b32_e32 v12, s14, v12
	v_sub_u32_e32 v1, v1, v13
	v_cmp_le_u32_e32 vcc, s40, v1
	v_cndmask_b32_e32 v11, v11, v15, vcc
	v_mul_hi_u32 v15, v14, v7
	v_subrev_u32_e32 v13, s40, v1
	v_cndmask_b32_e32 v1, v1, v13, vcc
	v_add_u32_e32 v13, 1, v11
	v_cmp_le_u32_e32 vcc, s40, v1
	v_cndmask_b32_e32 v1, v11, v13, vcc
	v_mul_lo_u32 v13, v15, s40
	v_xor_b32_e32 v1, v1, v12
	v_sub_u32_e32 v11, v1, v12
	v_add_u32_e32 v12, 1, v15
	v_sub_u32_e32 v1, v14, v13
	v_cmp_le_u32_e32 vcc, s40, v1
	v_subrev_u32_e32 v13, s40, v1
	v_cndmask_b32_e32 v12, v15, v12, vcc
	v_cndmask_b32_e32 v1, v1, v13, vcc
	v_ashrrev_i32_e32 v0, 31, v0
	v_add_u32_e32 v13, 1, v12
	v_cmp_le_u32_e32 vcc, s40, v1
	v_xor_b32_e32 v0, s14, v0
	v_cndmask_b32_e32 v1, v12, v13, vcc
	v_xor_b32_e32 v1, v1, v0
	v_sub_u32_e32 v12, v1, v0
	v_cmp_lt_i32_e64 s[4:5], v11, v12
	v_mov_b32_e32 v13, v4
	s_branch .LBB11_32
.LBB11_31:                              ;   in Loop: Header=BB11_32 Depth=2
	s_or_b64 exec, exec, s[20:21]
	v_add_u32_e32 v13, s33, v13
	v_cmp_ge_i32_e32 vcc, v13, v5
	s_or_b64 s[18:19], vcc, s[18:19]
	s_andn2_b64 exec, exec, s[18:19]
	s_cbranch_execz .LBB11_28
.LBB11_32:                              ;   Parent Loop BB11_29 Depth=1
                                        ; =>  This Loop Header: Depth=2
                                        ;       Child Loop BB11_35 Depth 3
                                        ;         Child Loop BB11_38 Depth 4
                                        ;           Child Loop BB11_40 Depth 5
                                        ;       Child Loop BB11_43 Depth 3
	s_and_saveexec_b64 s[20:21], s[4:5]
	s_cbranch_execz .LBB11_41
; %bb.33:                               ;   in Loop: Header=BB11_32 Depth=2
	v_lshlrev_b32_e32 v0, 2, v13
	v_add_u32_e32 v1, 0, v0
	v_add_u32_e32 v0, s41, v0
	ds_read_b32 v14, v1
	ds_read_b32 v15, v0
	s_mov_b64 s[24:25], 0
	v_mov_b32_e32 v16, v11
	s_waitcnt lgkmcnt(0)
	v_cmp_lt_i32_e64 s[6:7], v14, v15
	s_branch .LBB11_35
.LBB11_34:                              ;   in Loop: Header=BB11_35 Depth=3
	s_or_b64 exec, exec, s[26:27]
	v_add_u32_e32 v16, 1, v16
	v_cmp_ge_i32_e32 vcc, v16, v12
	s_or_b64 s[24:25], vcc, s[24:25]
	s_andn2_b64 exec, exec, s[24:25]
	s_cbranch_execz .LBB11_41
.LBB11_35:                              ;   Parent Loop BB11_29 Depth=1
                                        ;     Parent Loop BB11_32 Depth=2
                                        ; =>    This Loop Header: Depth=3
                                        ;         Child Loop BB11_38 Depth 4
                                        ;           Child Loop BB11_40 Depth 5
	s_and_saveexec_b64 s[26:27], s[6:7]
	s_cbranch_execz .LBB11_34
; %bb.36:                               ;   in Loop: Header=BB11_35 Depth=3
	v_mul_lo_u32 v0, v16, s22
	v_mov_b32_e32 v18, s39
	s_mov_b64 s[28:29], 0
	v_mov_b32_e32 v19, v14
	v_ashrrev_i32_e32 v1, 31, v0
	v_lshlrev_b64 v[0:1], 1, v[0:1]
	v_add_co_u32_e32 v17, vcc, s38, v0
	v_addc_co_u32_e32 v18, vcc, v18, v1, vcc
	s_branch .LBB11_38
.LBB11_37:                              ;   in Loop: Header=BB11_38 Depth=4
	s_or_b64 exec, exec, s[30:31]
	v_add_u32_e32 v19, 1, v19
	v_cmp_ge_i32_e32 vcc, v19, v15
	s_or_b64 s[28:29], vcc, s[28:29]
	s_andn2_b64 exec, exec, s[28:29]
	s_cbranch_execz .LBB11_34
.LBB11_38:                              ;   Parent Loop BB11_29 Depth=1
                                        ;     Parent Loop BB11_32 Depth=2
                                        ;       Parent Loop BB11_35 Depth=3
                                        ; =>      This Loop Header: Depth=4
                                        ;           Child Loop BB11_40 Depth 5
	s_and_saveexec_b64 s[30:31], s[2:3]
	s_cbranch_execz .LBB11_37
; %bb.39:                               ;   in Loop: Header=BB11_38 Depth=4
	v_mul_lo_u32 v0, v19, s23
	v_lshl_add_u32 v1, v19, 1, s42
	v_lshl_add_u32 v20, v16, 1, s17
	ds_read_u16 v22, v1
	ds_read_u16 v23, v20
	v_ashrrev_i32_e32 v1, 31, v0
	v_lshlrev_b64 v[0:1], 1, v[0:1]
	s_mov_b64 s[34:35], 0
	v_add_co_u32_e32 v20, vcc, v17, v0
	v_addc_co_u32_e32 v21, vcc, v18, v1, vcc
	s_waitcnt lgkmcnt(1)
	v_lshlrev_b32_e32 v0, 16, v22
	s_waitcnt lgkmcnt(0)
	v_lshlrev_b32_e32 v1, 16, v23
	v_mul_f32_e32 v0, v0, v1
	v_bfe_u32 v1, v0, 16, 1
	v_add3_u32 v1, v0, v1, s47
	v_and_b32_e32 v1, 0xffff0000, v1
	v_cmp_o_f32_e32 vcc, v0, v0
	v_cndmask_b32_e32 v22, v10, v1, vcc
	v_mov_b32_e32 v23, v9
	v_mov_b32_e32 v0, v8
	;; [unrolled: 1-line block ×3, first 2 shown]
.LBB11_40:                              ;   Parent Loop BB11_29 Depth=1
                                        ;     Parent Loop BB11_32 Depth=2
                                        ;       Parent Loop BB11_35 Depth=3
                                        ;         Parent Loop BB11_38 Depth=4
                                        ; =>        This Inner Loop Header: Depth=5
	v_ashrrev_i32_e32 v1, 31, v0
	v_lshlrev_b64 v[25:26], 1, v[0:1]
	v_add_u32_e32 v24, s43, v24
	v_add_co_u32_e32 v25, vcc, v20, v25
	v_addc_co_u32_e32 v26, vcc, v21, v26, vcc
	global_load_ushort v1, v[25:26], off
	ds_read_u16 v25, v23
	v_cmp_le_i32_e32 vcc, s13, v24
	s_or_b64 s[34:35], vcc, s[34:35]
	v_add_u32_e32 v0, s45, v0
	s_waitcnt lgkmcnt(0)
	v_lshlrev_b32_e32 v25, 16, v25
	s_waitcnt vmcnt(0)
	v_lshlrev_b32_e32 v1, 16, v1
	v_mul_f32_e32 v1, v22, v1
	v_bfe_u32 v26, v1, 16, 1
	v_cmp_o_f32_e32 vcc, v1, v1
	v_add3_u32 v1, v1, v26, s47
	v_and_b32_e32 v1, 0xffff0000, v1
	v_cndmask_b32_e32 v1, v10, v1, vcc
	v_add_f32_e32 v1, v1, v25
	v_bfe_u32 v25, v1, 16, 1
	v_cmp_o_f32_e32 vcc, v1, v1
	v_add3_u32 v1, v1, v25, s47
	v_mov_b32_e32 v25, 0x7fc0
	v_cndmask_b32_sdwa v1, v25, v1, vcc dst_sel:DWORD dst_unused:UNUSED_PAD src0_sel:DWORD src1_sel:WORD_1
	ds_write_b16 v23, v1
	v_add_u32_e32 v23, s46, v23
	s_andn2_b64 exec, exec, s[34:35]
	s_cbranch_execnz .LBB11_40
	s_branch .LBB11_37
.LBB11_41:                              ;   in Loop: Header=BB11_32 Depth=2
	s_or_b64 exec, exec, s[20:21]
	s_and_saveexec_b64 s[20:21], s[2:3]
	s_cbranch_execz .LBB11_31
; %bb.42:                               ;   in Loop: Header=BB11_32 Depth=2
	v_mul_lo_u32 v0, v2, s15
	v_mov_b32_e32 v16, s37
	s_mov_b64 s[24:25], 0
	v_mov_b32_e32 v14, v9
	v_add_u32_e32 v0, v13, v0
	v_mul_lo_u32 v0, v0, s13
	v_ashrrev_i32_e32 v1, 31, v0
	v_lshlrev_b64 v[0:1], 1, v[0:1]
	v_add_co_u32_e32 v15, vcc, s12, v0
	v_addc_co_u32_e32 v16, vcc, v16, v1, vcc
	v_mov_b32_e32 v0, v6
.LBB11_43:                              ;   Parent Loop BB11_29 Depth=1
                                        ;     Parent Loop BB11_32 Depth=2
                                        ; =>    This Inner Loop Header: Depth=3
	v_ashrrev_i32_e32 v1, 31, v0
	ds_read_u16 v19, v14
	v_mov_b32_e32 v17, 0
	ds_write_b16 v14, v17
	v_lshlrev_b64 v[17:18], 1, v[0:1]
	v_add_u32_e32 v0, s43, v0
	v_cmp_le_i32_e32 vcc, s13, v0
	v_add_co_u32_e64 v17, s[6:7], v15, v17
	v_add_u32_e32 v14, s46, v14
	v_addc_co_u32_e64 v18, s[6:7], v16, v18, s[6:7]
	s_or_b64 s[24:25], vcc, s[24:25]
	s_waitcnt lgkmcnt(1)
	global_store_short v[17:18], v19, off
	s_andn2_b64 exec, exec, s[24:25]
	s_cbranch_execnz .LBB11_43
	s_branch .LBB11_31
.LBB11_44:
	s_endpgm
	.section	.rodata,"a",@progbits
	.p2align	6, 0x0
	.amdhsa_kernel _ZN2at6native12_GLOBAL__N_131adaptive_average_gradinput_nhwcIiN3c108BFloat16EEEvPT0_PKS5_iiiiiiiiT_S9_S9_S9_
		.amdhsa_group_segment_fixed_size 0
		.amdhsa_private_segment_fixed_size 0
		.amdhsa_kernarg_size 320
		.amdhsa_user_sgpr_count 6
		.amdhsa_user_sgpr_private_segment_buffer 1
		.amdhsa_user_sgpr_dispatch_ptr 0
		.amdhsa_user_sgpr_queue_ptr 0
		.amdhsa_user_sgpr_kernarg_segment_ptr 1
		.amdhsa_user_sgpr_dispatch_id 0
		.amdhsa_user_sgpr_flat_scratch_init 0
		.amdhsa_user_sgpr_private_segment_size 0
		.amdhsa_uses_dynamic_stack 0
		.amdhsa_system_sgpr_private_segment_wavefront_offset 0
		.amdhsa_system_sgpr_workgroup_id_x 1
		.amdhsa_system_sgpr_workgroup_id_y 1
		.amdhsa_system_sgpr_workgroup_id_z 1
		.amdhsa_system_sgpr_workgroup_info 0
		.amdhsa_system_vgpr_workitem_id 2
		.amdhsa_next_free_vgpr 27
		.amdhsa_next_free_sgpr 48
		.amdhsa_reserve_vcc 1
		.amdhsa_reserve_flat_scratch 0
		.amdhsa_float_round_mode_32 0
		.amdhsa_float_round_mode_16_64 0
		.amdhsa_float_denorm_mode_32 3
		.amdhsa_float_denorm_mode_16_64 3
		.amdhsa_dx10_clamp 1
		.amdhsa_ieee_mode 1
		.amdhsa_fp16_overflow 0
		.amdhsa_exception_fp_ieee_invalid_op 0
		.amdhsa_exception_fp_denorm_src 0
		.amdhsa_exception_fp_ieee_div_zero 0
		.amdhsa_exception_fp_ieee_overflow 0
		.amdhsa_exception_fp_ieee_underflow 0
		.amdhsa_exception_fp_ieee_inexact 0
		.amdhsa_exception_int_div_zero 0
	.end_amdhsa_kernel
	.section	.text._ZN2at6native12_GLOBAL__N_131adaptive_average_gradinput_nhwcIiN3c108BFloat16EEEvPT0_PKS5_iiiiiiiiT_S9_S9_S9_,"axG",@progbits,_ZN2at6native12_GLOBAL__N_131adaptive_average_gradinput_nhwcIiN3c108BFloat16EEEvPT0_PKS5_iiiiiiiiT_S9_S9_S9_,comdat
.Lfunc_end11:
	.size	_ZN2at6native12_GLOBAL__N_131adaptive_average_gradinput_nhwcIiN3c108BFloat16EEEvPT0_PKS5_iiiiiiiiT_S9_S9_S9_, .Lfunc_end11-_ZN2at6native12_GLOBAL__N_131adaptive_average_gradinput_nhwcIiN3c108BFloat16EEEvPT0_PKS5_iiiiiiiiT_S9_S9_S9_
                                        ; -- End function
	.set _ZN2at6native12_GLOBAL__N_131adaptive_average_gradinput_nhwcIiN3c108BFloat16EEEvPT0_PKS5_iiiiiiiiT_S9_S9_S9_.num_vgpr, 27
	.set _ZN2at6native12_GLOBAL__N_131adaptive_average_gradinput_nhwcIiN3c108BFloat16EEEvPT0_PKS5_iiiiiiiiT_S9_S9_S9_.num_agpr, 0
	.set _ZN2at6native12_GLOBAL__N_131adaptive_average_gradinput_nhwcIiN3c108BFloat16EEEvPT0_PKS5_iiiiiiiiT_S9_S9_S9_.numbered_sgpr, 48
	.set _ZN2at6native12_GLOBAL__N_131adaptive_average_gradinput_nhwcIiN3c108BFloat16EEEvPT0_PKS5_iiiiiiiiT_S9_S9_S9_.num_named_barrier, 0
	.set _ZN2at6native12_GLOBAL__N_131adaptive_average_gradinput_nhwcIiN3c108BFloat16EEEvPT0_PKS5_iiiiiiiiT_S9_S9_S9_.private_seg_size, 0
	.set _ZN2at6native12_GLOBAL__N_131adaptive_average_gradinput_nhwcIiN3c108BFloat16EEEvPT0_PKS5_iiiiiiiiT_S9_S9_S9_.uses_vcc, 1
	.set _ZN2at6native12_GLOBAL__N_131adaptive_average_gradinput_nhwcIiN3c108BFloat16EEEvPT0_PKS5_iiiiiiiiT_S9_S9_S9_.uses_flat_scratch, 0
	.set _ZN2at6native12_GLOBAL__N_131adaptive_average_gradinput_nhwcIiN3c108BFloat16EEEvPT0_PKS5_iiiiiiiiT_S9_S9_S9_.has_dyn_sized_stack, 0
	.set _ZN2at6native12_GLOBAL__N_131adaptive_average_gradinput_nhwcIiN3c108BFloat16EEEvPT0_PKS5_iiiiiiiiT_S9_S9_S9_.has_recursion, 0
	.set _ZN2at6native12_GLOBAL__N_131adaptive_average_gradinput_nhwcIiN3c108BFloat16EEEvPT0_PKS5_iiiiiiiiT_S9_S9_S9_.has_indirect_call, 0
	.section	.AMDGPU.csdata,"",@progbits
; Kernel info:
; codeLenInByte = 5112
; TotalNumSgprs: 52
; NumVgprs: 27
; ScratchSize: 0
; MemoryBound: 0
; FloatMode: 240
; IeeeMode: 1
; LDSByteSize: 0 bytes/workgroup (compile time only)
; SGPRBlocks: 6
; VGPRBlocks: 6
; NumSGPRsForWavesPerEU: 52
; NumVGPRsForWavesPerEU: 27
; Occupancy: 9
; WaveLimiterHint : 0
; COMPUTE_PGM_RSRC2:SCRATCH_EN: 0
; COMPUTE_PGM_RSRC2:USER_SGPR: 6
; COMPUTE_PGM_RSRC2:TRAP_HANDLER: 0
; COMPUTE_PGM_RSRC2:TGID_X_EN: 1
; COMPUTE_PGM_RSRC2:TGID_Y_EN: 1
; COMPUTE_PGM_RSRC2:TGID_Z_EN: 1
; COMPUTE_PGM_RSRC2:TIDIG_COMP_CNT: 2
	.section	.text._ZN2at6native12_GLOBAL__N_133atomic_adaptive_average_gradinputIdEEvPT_PKS3_iiii,"axG",@progbits,_ZN2at6native12_GLOBAL__N_133atomic_adaptive_average_gradinputIdEEvPT_PKS3_iiii,comdat
	.globl	_ZN2at6native12_GLOBAL__N_133atomic_adaptive_average_gradinputIdEEvPT_PKS3_iiii ; -- Begin function _ZN2at6native12_GLOBAL__N_133atomic_adaptive_average_gradinputIdEEvPT_PKS3_iiii
	.p2align	8
	.type	_ZN2at6native12_GLOBAL__N_133atomic_adaptive_average_gradinputIdEEvPT_PKS3_iiii,@function
_ZN2at6native12_GLOBAL__N_133atomic_adaptive_average_gradinputIdEEvPT_PKS3_iiii: ; @_ZN2at6native12_GLOBAL__N_133atomic_adaptive_average_gradinputIdEEvPT_PKS3_iiii
; %bb.0:
	s_load_dword s2, s[4:5], 0x2c
	s_load_dwordx4 s[8:11], s[4:5], 0x10
	s_add_u32 s0, s4, 32
	s_addc_u32 s1, s5, 0
	s_waitcnt lgkmcnt(0)
	s_lshr_b32 s3, s2, 16
	s_mul_i32 s7, s7, s3
	v_add_u32_e32 v13, s7, v1
	v_cmp_gt_i32_e32 vcc, s10, v13
	s_and_saveexec_b64 s[12:13], vcc
	s_cbranch_execz .LBB12_22
; %bb.1:
	s_load_dwordx4 s[12:15], s[4:5], 0x0
	s_mul_i32 s4, s10, s6
	s_mul_i32 s4, s4, s11
	s_ashr_i32 s5, s4, 31
	s_lshl_b64 s[4:5], s[4:5], 3
	s_waitcnt lgkmcnt(0)
	s_add_u32 s33, s14, s4
	s_mul_i32 s4, s8, s6
	s_mul_i32 s4, s4, s9
	s_addc_u32 s34, s15, s5
	s_ashr_i32 s5, s4, 31
	s_load_dword s37, s[0:1], 0x4
	s_lshl_b64 s[0:1], s[4:5], 3
	s_add_u32 s35, s12, s0
	s_addc_u32 s36, s13, s1
	s_abs_i32 s41, s10
	v_cvt_f32_u32_e32 v1, s41
	s_abs_i32 s42, s11
	v_cvt_f32_u32_e32 v2, s42
	s_and_b32 s38, s2, 0xffff
	v_rcp_iflag_f32_e32 v1, v1
	s_sub_i32 s2, 0, s41
	v_rcp_iflag_f32_e32 v2, v2
	s_ashr_i32 s39, s10, 31
	v_mul_f32_e32 v1, 0x4f7ffffe, v1
	v_cvt_u32_f32_e32 v1, v1
	v_mul_f32_e32 v2, 0x4f7ffffe, v2
	v_cvt_u32_f32_e32 v2, v2
	s_waitcnt lgkmcnt(0)
	s_mul_i32 s37, s37, s3
	v_mul_lo_u32 v3, s2, v1
	s_sub_i32 s2, 0, s42
	v_mul_lo_u32 v4, s2, v2
	s_mov_b32 s40, s10
	v_mul_hi_u32 v3, v1, v3
	v_cmp_gt_i32_e64 s[0:1], s11, v0
	v_mul_hi_u32 v4, v2, v4
	s_ashr_i32 s7, s9, 31
	s_mov_b32 s6, s9
	s_ashr_i32 s43, s11, 31
	s_mov_b32 s44, s11
	s_mov_b32 s13, 0
	v_add_u32_e32 v14, v1, v3
	v_mov_b32_e32 v6, 0
	v_add_u32_e32 v15, v2, v4
	s_mov_b64 s[14:15], 0
	s_brev_b32 s45, -2
	s_ashr_i32 s16, s39, 31
	s_branch .LBB12_3
.LBB12_2:                               ;   in Loop: Header=BB12_3 Depth=1
	s_or_b64 exec, exec, s[18:19]
	v_add_u32_e32 v13, s37, v13
	v_cmp_le_i32_e32 vcc, s10, v13
	s_or_b64 s[14:15], vcc, s[14:15]
	s_andn2_b64 exec, exec, s[14:15]
	s_cbranch_execz .LBB12_22
.LBB12_3:                               ; =>This Loop Header: Depth=1
                                        ;     Child Loop BB12_10 Depth 2
                                        ;       Child Loop BB12_17 Depth 3
                                        ;         Child Loop BB12_19 Depth 4
                                        ;           Child Loop BB12_20 Depth 5
	v_add_u32_e32 v1, 1, v13
	v_mad_i64_i32 v[1:2], s[2:3], v1, s8, -1
	v_mov_b32_e32 v3, v6
	v_or_b32_e32 v4, s39, v2
	v_cmp_ne_u64_e32 vcc, 0, v[3:4]
                                        ; implicit-def: $vgpr3_vgpr4
	s_and_saveexec_b64 s[2:3], vcc
	s_xor_b64 s[4:5], exec, s[2:3]
	s_cbranch_execnz .LBB12_6
; %bb.4:                                ;   in Loop: Header=BB12_3 Depth=1
	s_andn2_saveexec_b64 s[2:3], s[4:5]
	s_cbranch_execnz .LBB12_7
.LBB12_5:                               ;   in Loop: Header=BB12_3 Depth=1
	s_or_b64 exec, exec, s[2:3]
	s_and_saveexec_b64 s[18:19], s[0:1]
	s_cbranch_execz .LBB12_2
	s_branch .LBB12_8
.LBB12_6:                               ;   in Loop: Header=BB12_3 Depth=1
	s_add_u32 s2, s40, s16
	s_mov_b32 s17, s16
	s_addc_u32 s3, s39, s16
	s_xor_b64 s[18:19], s[2:3], s[16:17]
	v_cvt_f32_u32_e32 v3, s18
	v_cvt_f32_u32_e32 v4, s19
	s_sub_u32 s12, 0, s18
	s_subb_u32 s17, 0, s19
	v_ashrrev_i32_e32 v5, 31, v2
	v_mac_f32_e32 v3, 0x4f800000, v4
	v_rcp_f32_e32 v3, v3
	v_add_co_u32_e32 v1, vcc, v1, v5
	v_xor_b32_e32 v7, v1, v5
	v_mul_f32_e32 v3, 0x5f7ffffc, v3
	v_mul_f32_e32 v4, 0x2f800000, v3
	v_trunc_f32_e32 v4, v4
	v_mac_f32_e32 v3, 0xcf800000, v4
	v_cvt_u32_f32_e32 v4, v4
	v_cvt_u32_f32_e32 v3, v3
	v_readfirstlane_b32 s20, v4
	v_readfirstlane_b32 s2, v3
	s_mul_i32 s3, s12, s20
	s_mul_hi_u32 s22, s12, s2
	s_mul_i32 s21, s17, s2
	s_add_i32 s3, s22, s3
	s_add_i32 s3, s3, s21
	s_mul_i32 s23, s12, s2
	s_mul_i32 s22, s2, s3
	s_mul_hi_u32 s24, s2, s23
	s_mul_hi_u32 s21, s2, s3
	s_add_u32 s22, s24, s22
	s_addc_u32 s21, 0, s21
	s_mul_hi_u32 s25, s20, s23
	s_mul_i32 s23, s20, s23
	s_add_u32 s22, s22, s23
	s_mul_hi_u32 s24, s20, s3
	s_addc_u32 s21, s21, s25
	s_addc_u32 s22, s24, 0
	s_mul_i32 s3, s20, s3
	s_add_u32 s3, s21, s3
	s_addc_u32 s21, 0, s22
	s_add_u32 s22, s2, s3
	s_cselect_b64 s[2:3], -1, 0
	s_cmp_lg_u64 s[2:3], 0
	s_addc_u32 s20, s20, s21
	s_mul_i32 s2, s12, s20
	s_mul_hi_u32 s3, s12, s22
	s_add_i32 s2, s3, s2
	s_mul_i32 s17, s17, s22
	s_add_i32 s2, s2, s17
	s_mul_i32 s12, s12, s22
	s_mul_hi_u32 s17, s20, s12
	s_mul_i32 s21, s20, s12
	s_mul_i32 s24, s22, s2
	s_mul_hi_u32 s12, s22, s12
	s_mul_hi_u32 s23, s22, s2
	s_add_u32 s12, s12, s24
	s_addc_u32 s23, 0, s23
	s_add_u32 s12, s12, s21
	s_mul_hi_u32 s3, s20, s2
	s_addc_u32 s12, s23, s17
	s_addc_u32 s3, s3, 0
	s_mul_i32 s2, s20, s2
	s_add_u32 s2, s12, s2
	s_addc_u32 s12, 0, s3
	s_add_u32 s17, s22, s2
	s_cselect_b64 s[2:3], -1, 0
	s_cmp_lg_u64 s[2:3], 0
	s_addc_u32 s12, s20, s12
	v_addc_co_u32_e32 v3, vcc, v2, v5, vcc
	v_mad_u64_u32 v[1:2], s[2:3], v7, s12, 0
	v_mul_hi_u32 v4, v7, s17
	v_xor_b32_e32 v8, v3, v5
	v_add_co_u32_e32 v9, vcc, v4, v1
	v_addc_co_u32_e32 v10, vcc, 0, v2, vcc
	v_mad_u64_u32 v[1:2], s[2:3], v8, s17, 0
	v_mad_u64_u32 v[3:4], s[2:3], v8, s12, 0
	v_add_co_u32_e32 v1, vcc, v9, v1
	v_addc_co_u32_e32 v1, vcc, v10, v2, vcc
	v_addc_co_u32_e32 v2, vcc, 0, v4, vcc
	v_add_co_u32_e32 v3, vcc, v1, v3
	v_addc_co_u32_e32 v1, vcc, 0, v2, vcc
	v_mul_lo_u32 v4, s19, v3
	v_mul_lo_u32 v9, s18, v1
	v_mad_u64_u32 v[1:2], s[2:3], s18, v3, 0
	v_add3_u32 v2, v2, v9, v4
	v_sub_u32_e32 v4, v8, v2
	v_mov_b32_e32 v9, s19
	v_sub_co_u32_e32 v1, vcc, v7, v1
	v_subb_co_u32_e64 v4, s[2:3], v4, v9, vcc
	v_subrev_co_u32_e64 v7, s[2:3], s18, v1
	v_subbrev_co_u32_e64 v4, s[2:3], 0, v4, s[2:3]
	v_cmp_le_u32_e64 s[2:3], s19, v4
	v_subb_co_u32_e32 v2, vcc, v8, v2, vcc
	v_cndmask_b32_e64 v9, 0, -1, s[2:3]
	v_cmp_le_u32_e64 s[2:3], s18, v7
	v_cmp_le_u32_e32 vcc, s19, v2
	v_cndmask_b32_e64 v7, 0, -1, s[2:3]
	v_cmp_eq_u32_e64 s[2:3], s19, v4
	v_cndmask_b32_e64 v8, 0, -1, vcc
	v_cmp_le_u32_e32 vcc, s18, v1
	v_cndmask_b32_e64 v4, v9, v7, s[2:3]
	v_cndmask_b32_e64 v1, 0, -1, vcc
	v_cmp_eq_u32_e32 vcc, s19, v2
	v_add_co_u32_e64 v7, s[2:3], 2, v3
	v_add_co_u32_e64 v9, s[2:3], 1, v3
	v_cndmask_b32_e32 v1, v8, v1, vcc
	v_cmp_ne_u32_e32 vcc, 0, v4
	v_cndmask_b32_e32 v2, v9, v7, vcc
	v_cmp_ne_u32_e32 vcc, 0, v1
	v_cndmask_b32_e32 v1, v3, v2, vcc
	v_xor_b32_e32 v2, s16, v5
	v_xor_b32_e32 v1, v1, v2
	v_sub_co_u32_e32 v3, vcc, v1, v2
                                        ; implicit-def: $vgpr1_vgpr2
	s_andn2_saveexec_b64 s[2:3], s[4:5]
	s_cbranch_execz .LBB12_5
.LBB12_7:                               ;   in Loop: Header=BB12_3 Depth=1
	v_cvt_f32_u32_e32 v2, s40
	s_sub_i32 s4, 0, s40
	v_rcp_iflag_f32_e32 v2, v2
	v_mul_f32_e32 v2, 0x4f7ffffe, v2
	v_cvt_u32_f32_e32 v2, v2
	v_mul_lo_u32 v3, s4, v2
	v_mul_hi_u32 v3, v2, v3
	v_add_u32_e32 v2, v2, v3
	v_mul_hi_u32 v2, v1, v2
	v_mul_lo_u32 v3, v2, s40
	v_add_u32_e32 v4, 1, v2
	v_sub_u32_e32 v1, v1, v3
	v_subrev_u32_e32 v3, s40, v1
	v_cmp_le_u32_e32 vcc, s40, v1
	v_cndmask_b32_e32 v1, v1, v3, vcc
	v_cndmask_b32_e32 v2, v2, v4, vcc
	v_add_u32_e32 v3, 1, v2
	v_cmp_le_u32_e32 vcc, s40, v1
	v_cndmask_b32_e32 v3, v2, v3, vcc
	s_or_b64 exec, exec, s[2:3]
	s_and_saveexec_b64 s[18:19], s[0:1]
	s_cbranch_execz .LBB12_2
.LBB12_8:                               ;   in Loop: Header=BB12_3 Depth=1
	v_sub_u32_e32 v1, 0, v13
	v_max_i32_e32 v1, v13, v1
	v_mul_hi_u32 v2, v1, v14
	v_ashrrev_i32_e32 v5, 31, v13
	v_xor_b32_e32 v5, s39, v5
	s_mov_b64 s[20:21], 0
	v_mul_lo_u32 v4, v2, s41
	v_add_u32_e32 v7, 1, v2
	v_sub_u32_e32 v1, v1, v4
	v_cmp_le_u32_e32 vcc, s41, v1
	v_subrev_u32_e32 v4, s41, v1
	v_cndmask_b32_e32 v2, v2, v7, vcc
	v_cndmask_b32_e32 v1, v1, v4, vcc
	v_add_u32_e32 v4, 1, v2
	v_cmp_le_u32_e32 vcc, s41, v1
	v_cndmask_b32_e32 v1, v2, v4, vcc
	v_xor_b32_e32 v1, v1, v5
	v_sub_u32_e32 v4, v1, v5
	v_mul_lo_u32 v1, v4, s10
	v_sub_u32_e32 v1, v13, v1
	v_mul_lo_u32 v2, v1, s8
	v_sub_u32_e32 v1, 0, v2
	v_max_i32_e32 v5, v2, v1
	v_mul_hi_u32 v7, v5, v14
	v_ashrrev_i32_e32 v2, 31, v2
	v_xor_b32_e32 v2, s39, v2
	v_mul_lo_u32 v1, v13, s11
	v_mul_lo_u32 v8, v7, s41
	v_add_u32_e32 v9, 1, v7
	v_sub_u32_e32 v5, v5, v8
	v_cmp_le_u32_e32 vcc, s41, v5
	v_subrev_u32_e32 v8, s41, v5
	v_cndmask_b32_e32 v7, v7, v9, vcc
	v_cndmask_b32_e32 v5, v5, v8, vcc
	v_add_u32_e32 v8, 1, v7
	v_cmp_le_u32_e32 vcc, s41, v5
	v_cndmask_b32_e32 v5, v7, v8, vcc
	v_xor_b32_e32 v5, v5, v2
	v_sub_u32_e32 v2, v5, v2
	v_mad_u64_u32 v[4:5], s[2:3], v4, s8, v[2:3]
	v_ashrrev_i32_e32 v2, 31, v1
	v_mov_b32_e32 v5, s36
	v_mul_lo_u32 v7, v4, s9
	v_sub_u32_e32 v16, v3, v4
	v_add_u32_e32 v10, 1, v16
	v_lshlrev_b64 v[1:2], 3, v[1:2]
	v_ashrrev_i32_e32 v8, 31, v7
	v_lshlrev_b64 v[3:4], 3, v[7:8]
	v_cvt_f64_i32_e32 v[7:8], v10
	v_add_co_u32_e32 v17, vcc, s35, v3
	v_addc_co_u32_e32 v18, vcc, v5, v4, vcc
	v_mov_b32_e32 v9, s34
	v_add_co_u32_e32 v19, vcc, s33, v1
	v_addc_co_u32_e32 v20, vcc, v9, v2, vcc
	v_cmp_gt_u32_e64 s[2:3], s45, v16
	v_mov_b32_e32 v5, v0
	s_branch .LBB12_10
.LBB12_9:                               ;   in Loop: Header=BB12_10 Depth=2
	s_or_b64 exec, exec, s[22:23]
	v_add_u32_e32 v5, s38, v5
	v_cmp_le_i32_e32 vcc, s11, v5
	s_or_b64 s[20:21], vcc, s[20:21]
	s_andn2_b64 exec, exec, s[20:21]
	s_cbranch_execz .LBB12_2
.LBB12_10:                              ;   Parent Loop BB12_3 Depth=1
                                        ; =>  This Loop Header: Depth=2
                                        ;       Child Loop BB12_17 Depth 3
                                        ;         Child Loop BB12_19 Depth 4
                                        ;           Child Loop BB12_20 Depth 5
	v_add_u32_e32 v2, 1, v5
	v_mad_u64_u32 v[3:4], s[4:5], v2, s6, -1
	v_mov_b32_e32 v9, v6
	v_mov_b32_e32 v1, v4
	v_mad_u64_u32 v[1:2], s[4:5], v2, s7, v[1:2]
	v_or_b32_e32 v10, s43, v1
	v_cmp_ne_u64_e32 vcc, 0, v[9:10]
	v_mov_b32_e32 v4, v1
                                        ; implicit-def: $vgpr1_vgpr2
	s_and_saveexec_b64 s[4:5], vcc
	s_xor_b64 s[22:23], exec, s[4:5]
	s_cbranch_execnz .LBB12_13
; %bb.11:                               ;   in Loop: Header=BB12_10 Depth=2
	s_andn2_saveexec_b64 s[4:5], s[22:23]
	s_cbranch_execnz .LBB12_14
.LBB12_12:                              ;   in Loop: Header=BB12_10 Depth=2
	s_or_b64 exec, exec, s[4:5]
	s_and_saveexec_b64 s[22:23], s[2:3]
	s_cbranch_execz .LBB12_9
	s_branch .LBB12_15
.LBB12_13:                              ;   in Loop: Header=BB12_10 Depth=2
	s_ashr_i32 s24, s43, 31
	s_add_u32 s4, s44, s24
	s_mov_b32 s25, s24
	s_addc_u32 s5, s43, s24
	s_xor_b64 s[26:27], s[4:5], s[24:25]
	v_cvt_f32_u32_e32 v1, s26
	v_cvt_f32_u32_e32 v2, s27
	s_sub_u32 s12, 0, s26
	s_subb_u32 s17, 0, s27
	v_ashrrev_i32_e32 v9, 31, v4
	v_mac_f32_e32 v1, 0x4f800000, v2
	v_rcp_f32_e32 v1, v1
	v_mul_f32_e32 v1, 0x5f7ffffc, v1
	v_mul_f32_e32 v2, 0x2f800000, v1
	v_trunc_f32_e32 v2, v2
	v_mac_f32_e32 v1, 0xcf800000, v2
	v_cvt_u32_f32_e32 v2, v2
	v_cvt_u32_f32_e32 v1, v1
	v_readfirstlane_b32 s25, v2
	v_readfirstlane_b32 s4, v1
	s_mul_i32 s5, s12, s25
	s_mul_hi_u32 s29, s12, s4
	s_mul_i32 s28, s17, s4
	s_add_i32 s5, s29, s5
	s_add_i32 s5, s5, s28
	s_mul_i32 s30, s12, s4
	s_mul_i32 s29, s4, s5
	s_mul_hi_u32 s31, s4, s30
	s_mul_hi_u32 s28, s4, s5
	s_add_u32 s29, s31, s29
	s_addc_u32 s28, 0, s28
	s_mul_hi_u32 s46, s25, s30
	s_mul_i32 s30, s25, s30
	s_add_u32 s29, s29, s30
	s_mul_hi_u32 s31, s25, s5
	s_addc_u32 s28, s28, s46
	s_addc_u32 s29, s31, 0
	s_mul_i32 s5, s25, s5
	s_add_u32 s5, s28, s5
	s_addc_u32 s28, 0, s29
	s_add_u32 s29, s4, s5
	s_cselect_b64 s[4:5], -1, 0
	s_cmp_lg_u64 s[4:5], 0
	s_addc_u32 s25, s25, s28
	s_mul_i32 s4, s12, s25
	s_mul_hi_u32 s5, s12, s29
	s_add_i32 s4, s5, s4
	s_mul_i32 s17, s17, s29
	s_add_i32 s4, s4, s17
	s_mul_i32 s12, s12, s29
	s_mul_hi_u32 s17, s25, s12
	s_mul_i32 s28, s25, s12
	s_mul_i32 s31, s29, s4
	s_mul_hi_u32 s12, s29, s12
	s_mul_hi_u32 s30, s29, s4
	s_add_u32 s12, s12, s31
	s_addc_u32 s30, 0, s30
	s_add_u32 s12, s12, s28
	s_mul_hi_u32 s5, s25, s4
	s_addc_u32 s12, s30, s17
	s_addc_u32 s5, s5, 0
	s_mul_i32 s4, s25, s4
	s_add_u32 s4, s12, s4
	s_addc_u32 s12, 0, s5
	s_add_u32 s17, s29, s4
	s_cselect_b64 s[4:5], -1, 0
	s_cmp_lg_u64 s[4:5], 0
	v_add_co_u32_e32 v1, vcc, v3, v9
	s_addc_u32 s12, s25, s12
	v_xor_b32_e32 v10, v1, v9
	v_addc_co_u32_e32 v3, vcc, v4, v9, vcc
	v_mad_u64_u32 v[1:2], s[4:5], v10, s12, 0
	v_mul_hi_u32 v4, v10, s17
	v_xor_b32_e32 v11, v3, v9
	v_add_co_u32_e32 v12, vcc, v4, v1
	v_addc_co_u32_e32 v21, vcc, 0, v2, vcc
	v_mad_u64_u32 v[1:2], s[4:5], v11, s17, 0
	v_mad_u64_u32 v[3:4], s[4:5], v11, s12, 0
	v_add_co_u32_e32 v1, vcc, v12, v1
	v_addc_co_u32_e32 v1, vcc, v21, v2, vcc
	v_addc_co_u32_e32 v2, vcc, 0, v4, vcc
	v_add_co_u32_e32 v3, vcc, v1, v3
	v_addc_co_u32_e32 v1, vcc, 0, v2, vcc
	v_mul_lo_u32 v4, s27, v3
	v_mul_lo_u32 v12, s26, v1
	v_mad_u64_u32 v[1:2], s[4:5], s26, v3, 0
	v_add3_u32 v2, v2, v12, v4
	v_sub_u32_e32 v4, v11, v2
	v_mov_b32_e32 v12, s27
	v_sub_co_u32_e32 v1, vcc, v10, v1
	v_subb_co_u32_e64 v4, s[4:5], v4, v12, vcc
	v_subrev_co_u32_e64 v10, s[4:5], s26, v1
	v_subbrev_co_u32_e64 v4, s[4:5], 0, v4, s[4:5]
	v_cmp_le_u32_e64 s[4:5], s27, v4
	v_subb_co_u32_e32 v2, vcc, v11, v2, vcc
	v_cndmask_b32_e64 v12, 0, -1, s[4:5]
	v_cmp_le_u32_e64 s[4:5], s26, v10
	v_cmp_le_u32_e32 vcc, s27, v2
	v_cndmask_b32_e64 v10, 0, -1, s[4:5]
	v_cmp_eq_u32_e64 s[4:5], s27, v4
	v_cndmask_b32_e64 v11, 0, -1, vcc
	v_cmp_le_u32_e32 vcc, s26, v1
	v_cndmask_b32_e64 v4, v12, v10, s[4:5]
	v_cndmask_b32_e64 v1, 0, -1, vcc
	v_cmp_eq_u32_e32 vcc, s27, v2
	v_add_co_u32_e64 v10, s[4:5], 2, v3
	v_add_co_u32_e64 v12, s[4:5], 1, v3
	v_cndmask_b32_e32 v1, v11, v1, vcc
	v_cmp_ne_u32_e32 vcc, 0, v4
	v_cndmask_b32_e32 v2, v12, v10, vcc
	v_cmp_ne_u32_e32 vcc, 0, v1
	v_cndmask_b32_e32 v1, v3, v2, vcc
	v_xor_b32_e32 v2, s24, v9
	v_xor_b32_e32 v1, v1, v2
	v_sub_co_u32_e32 v1, vcc, v1, v2
                                        ; implicit-def: $vgpr3_vgpr4
	s_andn2_saveexec_b64 s[4:5], s[22:23]
	s_cbranch_execz .LBB12_12
.LBB12_14:                              ;   in Loop: Header=BB12_10 Depth=2
	v_cvt_f32_u32_e32 v1, s44
	s_sub_i32 s12, 0, s44
	v_rcp_iflag_f32_e32 v1, v1
	v_mul_f32_e32 v1, 0x4f7ffffe, v1
	v_cvt_u32_f32_e32 v1, v1
	v_mul_lo_u32 v2, s12, v1
	v_mul_hi_u32 v2, v1, v2
	v_add_u32_e32 v1, v1, v2
	v_mul_hi_u32 v1, v3, v1
	v_mul_lo_u32 v2, v1, s44
	v_add_u32_e32 v4, 1, v1
	v_sub_u32_e32 v2, v3, v2
	v_subrev_u32_e32 v3, s44, v2
	v_cmp_le_u32_e32 vcc, s44, v2
	v_cndmask_b32_e32 v2, v2, v3, vcc
	v_cndmask_b32_e32 v1, v1, v4, vcc
	v_add_u32_e32 v3, 1, v1
	v_cmp_le_u32_e32 vcc, s44, v2
	v_cndmask_b32_e32 v1, v1, v3, vcc
	s_or_b64 exec, exec, s[4:5]
	s_and_saveexec_b64 s[22:23], s[2:3]
	s_cbranch_execz .LBB12_9
.LBB12_15:                              ;   in Loop: Header=BB12_10 Depth=2
	v_lshlrev_b64 v[2:3], 3, v[5:6]
	v_mul_hi_u32 v4, v5, v15
	v_add_co_u32_e32 v2, vcc, v19, v2
	v_addc_co_u32_e32 v3, vcc, v20, v3, vcc
	global_load_dwordx2 v[2:3], v[2:3], off
	v_mul_lo_u32 v9, v5, s9
	v_mul_lo_u32 v10, v4, s42
	v_add_u32_e32 v11, 1, v4
	s_mov_b32 s17, 0
	v_sub_u32_e32 v12, 0, v9
	v_ashrrev_i32_e32 v21, 31, v9
	v_max_i32_e32 v9, v9, v12
	v_xor_b32_e32 v12, s43, v21
	v_mul_hi_u32 v21, v9, v15
	v_sub_u32_e32 v10, v5, v10
	v_cmp_le_u32_e32 vcc, s42, v10
	v_cndmask_b32_e32 v4, v4, v11, vcc
	v_subrev_u32_e32 v11, s42, v10
	v_cndmask_b32_e32 v10, v10, v11, vcc
	v_mul_lo_u32 v22, v21, s42
	v_add_u32_e32 v11, 1, v4
	v_cmp_le_u32_e32 vcc, s42, v10
	v_cndmask_b32_e32 v4, v4, v11, vcc
	v_xor_b32_e32 v4, s43, v4
	v_subrev_u32_e32 v10, s43, v4
	v_sub_u32_e32 v4, v9, v22
	v_add_u32_e32 v23, 1, v21
	v_cmp_le_u32_e32 vcc, s42, v4
	v_subrev_u32_e32 v11, s42, v4
	v_cndmask_b32_e32 v9, v21, v23, vcc
	v_cndmask_b32_e32 v4, v4, v11, vcc
	v_add_u32_e32 v11, 1, v9
	v_cmp_le_u32_e32 vcc, s42, v4
	v_cndmask_b32_e32 v4, v9, v11, vcc
	v_xor_b32_e32 v4, v4, v12
	v_sub_u32_e32 v4, v4, v12
	v_mad_u64_u32 v[11:12], s[4:5], v10, s9, v[4:5]
	s_mov_b64 s[24:25], 0
	v_sub_u32_e32 v21, v1, v11
	v_add_u32_e32 v1, 1, v21
	v_cvt_f64_i32_e32 v[9:10], v1
	v_ashrrev_i32_e32 v12, 31, v11
	s_waitcnt vmcnt(0)
	v_div_scale_f64 v[22:23], s[4:5], v[9:10], v[9:10], v[2:3]
	v_rcp_f64_e32 v[24:25], v[22:23]
	v_fma_f64 v[26:27], -v[22:23], v[24:25], 1.0
	v_fma_f64 v[24:25], v[24:25], v[26:27], v[24:25]
	v_div_scale_f64 v[26:27], vcc, v[2:3], v[9:10], v[2:3]
	v_fma_f64 v[28:29], -v[22:23], v[24:25], 1.0
	v_fma_f64 v[24:25], v[24:25], v[28:29], v[24:25]
	v_mul_f64 v[28:29], v[26:27], v[24:25]
	v_fma_f64 v[22:23], -v[22:23], v[28:29], v[26:27]
	v_div_fmas_f64 v[22:23], v[22:23], v[24:25], v[28:29]
	v_div_fixup_f64 v[1:2], v[22:23], v[9:10], v[2:3]
	v_div_scale_f64 v[3:4], s[4:5], v[7:8], v[7:8], v[1:2]
	v_rcp_f64_e32 v[9:10], v[3:4]
	v_fma_f64 v[22:23], -v[3:4], v[9:10], 1.0
	v_fma_f64 v[9:10], v[9:10], v[22:23], v[9:10]
	v_div_scale_f64 v[22:23], vcc, v[1:2], v[7:8], v[1:2]
	v_fma_f64 v[24:25], -v[3:4], v[9:10], 1.0
	v_fma_f64 v[9:10], v[9:10], v[24:25], v[9:10]
	v_mul_f64 v[24:25], v[22:23], v[9:10]
	v_fma_f64 v[3:4], -v[3:4], v[24:25], v[22:23]
	v_div_fmas_f64 v[3:4], v[3:4], v[9:10], v[24:25]
	v_div_fixup_f64 v[9:10], v[3:4], v[7:8], v[1:2]
	v_lshlrev_b64 v[1:2], 3, v[11:12]
	v_add_co_u32_e32 v22, vcc, v17, v1
	v_addc_co_u32_e32 v23, vcc, v18, v2, vcc
	v_cmp_gt_u32_e32 vcc, s45, v21
	s_branch .LBB12_17
.LBB12_16:                              ;   in Loop: Header=BB12_17 Depth=3
	s_or_b64 exec, exec, s[26:27]
	s_lshl_b64 s[4:5], s[6:7], 3
	v_mov_b32_e32 v1, s5
	v_add_co_u32_e64 v22, s[4:5], s4, v22
	v_addc_co_u32_e64 v23, s[4:5], v23, v1, s[4:5]
	s_add_i32 s12, s17, 1
	v_cmp_eq_u32_e64 s[4:5], s17, v16
	s_or_b64 s[24:25], s[4:5], s[24:25]
	s_mov_b32 s17, s12
	s_andn2_b64 exec, exec, s[24:25]
	s_cbranch_execz .LBB12_9
.LBB12_17:                              ;   Parent Loop BB12_3 Depth=1
                                        ;     Parent Loop BB12_10 Depth=2
                                        ; =>    This Loop Header: Depth=3
                                        ;         Child Loop BB12_19 Depth 4
                                        ;           Child Loop BB12_20 Depth 5
	s_and_saveexec_b64 s[26:27], vcc
	s_cbranch_execz .LBB12_16
; %bb.18:                               ;   in Loop: Header=BB12_17 Depth=3
	s_mov_b32 s12, 0
	s_mov_b64 s[28:29], 0
.LBB12_19:                              ;   Parent Loop BB12_3 Depth=1
                                        ;     Parent Loop BB12_10 Depth=2
                                        ;       Parent Loop BB12_17 Depth=3
                                        ; =>      This Loop Header: Depth=4
                                        ;           Child Loop BB12_20 Depth 5
	s_lshl_b64 s[4:5], s[12:13], 3
	v_mov_b32_e32 v1, s5
	v_add_co_u32_e64 v11, s[4:5], s4, v22
	v_addc_co_u32_e64 v12, s[4:5], v23, v1, s[4:5]
	global_load_dwordx2 v[3:4], v[11:12], off
	s_mov_b64 s[30:31], 0
.LBB12_20:                              ;   Parent Loop BB12_3 Depth=1
                                        ;     Parent Loop BB12_10 Depth=2
                                        ;       Parent Loop BB12_17 Depth=3
                                        ;         Parent Loop BB12_19 Depth=4
                                        ; =>        This Inner Loop Header: Depth=5
	s_waitcnt vmcnt(0)
	v_add_f64 v[1:2], v[3:4], v[9:10]
	global_atomic_cmpswap_x2 v[1:2], v[11:12], v[1:4], off glc
	s_waitcnt vmcnt(0)
	v_cmp_eq_u64_e64 s[4:5], v[1:2], v[3:4]
	v_mov_b32_e32 v4, v2
	s_or_b64 s[30:31], s[4:5], s[30:31]
	v_mov_b32_e32 v3, v1
	s_andn2_b64 exec, exec, s[30:31]
	s_cbranch_execnz .LBB12_20
; %bb.21:                               ;   in Loop: Header=BB12_19 Depth=4
	s_or_b64 exec, exec, s[30:31]
	s_add_i32 s30, s12, 1
	v_cmp_eq_u32_e64 s[4:5], s12, v21
	s_or_b64 s[28:29], s[4:5], s[28:29]
	s_mov_b32 s12, s30
	s_andn2_b64 exec, exec, s[28:29]
	s_cbranch_execnz .LBB12_19
	s_branch .LBB12_16
.LBB12_22:
	s_endpgm
	.section	.rodata,"a",@progbits
	.p2align	6, 0x0
	.amdhsa_kernel _ZN2at6native12_GLOBAL__N_133atomic_adaptive_average_gradinputIdEEvPT_PKS3_iiii
		.amdhsa_group_segment_fixed_size 0
		.amdhsa_private_segment_fixed_size 0
		.amdhsa_kernarg_size 288
		.amdhsa_user_sgpr_count 6
		.amdhsa_user_sgpr_private_segment_buffer 1
		.amdhsa_user_sgpr_dispatch_ptr 0
		.amdhsa_user_sgpr_queue_ptr 0
		.amdhsa_user_sgpr_kernarg_segment_ptr 1
		.amdhsa_user_sgpr_dispatch_id 0
		.amdhsa_user_sgpr_flat_scratch_init 0
		.amdhsa_user_sgpr_private_segment_size 0
		.amdhsa_uses_dynamic_stack 0
		.amdhsa_system_sgpr_private_segment_wavefront_offset 0
		.amdhsa_system_sgpr_workgroup_id_x 1
		.amdhsa_system_sgpr_workgroup_id_y 1
		.amdhsa_system_sgpr_workgroup_id_z 0
		.amdhsa_system_sgpr_workgroup_info 0
		.amdhsa_system_vgpr_workitem_id 1
		.amdhsa_next_free_vgpr 30
		.amdhsa_next_free_sgpr 47
		.amdhsa_reserve_vcc 1
		.amdhsa_reserve_flat_scratch 0
		.amdhsa_float_round_mode_32 0
		.amdhsa_float_round_mode_16_64 0
		.amdhsa_float_denorm_mode_32 3
		.amdhsa_float_denorm_mode_16_64 3
		.amdhsa_dx10_clamp 1
		.amdhsa_ieee_mode 1
		.amdhsa_fp16_overflow 0
		.amdhsa_exception_fp_ieee_invalid_op 0
		.amdhsa_exception_fp_denorm_src 0
		.amdhsa_exception_fp_ieee_div_zero 0
		.amdhsa_exception_fp_ieee_overflow 0
		.amdhsa_exception_fp_ieee_underflow 0
		.amdhsa_exception_fp_ieee_inexact 0
		.amdhsa_exception_int_div_zero 0
	.end_amdhsa_kernel
	.section	.text._ZN2at6native12_GLOBAL__N_133atomic_adaptive_average_gradinputIdEEvPT_PKS3_iiii,"axG",@progbits,_ZN2at6native12_GLOBAL__N_133atomic_adaptive_average_gradinputIdEEvPT_PKS3_iiii,comdat
.Lfunc_end12:
	.size	_ZN2at6native12_GLOBAL__N_133atomic_adaptive_average_gradinputIdEEvPT_PKS3_iiii, .Lfunc_end12-_ZN2at6native12_GLOBAL__N_133atomic_adaptive_average_gradinputIdEEvPT_PKS3_iiii
                                        ; -- End function
	.set _ZN2at6native12_GLOBAL__N_133atomic_adaptive_average_gradinputIdEEvPT_PKS3_iiii.num_vgpr, 30
	.set _ZN2at6native12_GLOBAL__N_133atomic_adaptive_average_gradinputIdEEvPT_PKS3_iiii.num_agpr, 0
	.set _ZN2at6native12_GLOBAL__N_133atomic_adaptive_average_gradinputIdEEvPT_PKS3_iiii.numbered_sgpr, 47
	.set _ZN2at6native12_GLOBAL__N_133atomic_adaptive_average_gradinputIdEEvPT_PKS3_iiii.num_named_barrier, 0
	.set _ZN2at6native12_GLOBAL__N_133atomic_adaptive_average_gradinputIdEEvPT_PKS3_iiii.private_seg_size, 0
	.set _ZN2at6native12_GLOBAL__N_133atomic_adaptive_average_gradinputIdEEvPT_PKS3_iiii.uses_vcc, 1
	.set _ZN2at6native12_GLOBAL__N_133atomic_adaptive_average_gradinputIdEEvPT_PKS3_iiii.uses_flat_scratch, 0
	.set _ZN2at6native12_GLOBAL__N_133atomic_adaptive_average_gradinputIdEEvPT_PKS3_iiii.has_dyn_sized_stack, 0
	.set _ZN2at6native12_GLOBAL__N_133atomic_adaptive_average_gradinputIdEEvPT_PKS3_iiii.has_recursion, 0
	.set _ZN2at6native12_GLOBAL__N_133atomic_adaptive_average_gradinputIdEEvPT_PKS3_iiii.has_indirect_call, 0
	.section	.AMDGPU.csdata,"",@progbits
; Kernel info:
; codeLenInByte = 2692
; TotalNumSgprs: 51
; NumVgprs: 30
; ScratchSize: 0
; MemoryBound: 0
; FloatMode: 240
; IeeeMode: 1
; LDSByteSize: 0 bytes/workgroup (compile time only)
; SGPRBlocks: 6
; VGPRBlocks: 7
; NumSGPRsForWavesPerEU: 51
; NumVGPRsForWavesPerEU: 30
; Occupancy: 8
; WaveLimiterHint : 0
; COMPUTE_PGM_RSRC2:SCRATCH_EN: 0
; COMPUTE_PGM_RSRC2:USER_SGPR: 6
; COMPUTE_PGM_RSRC2:TRAP_HANDLER: 0
; COMPUTE_PGM_RSRC2:TGID_X_EN: 1
; COMPUTE_PGM_RSRC2:TGID_Y_EN: 1
; COMPUTE_PGM_RSRC2:TGID_Z_EN: 0
; COMPUTE_PGM_RSRC2:TIDIG_COMP_CNT: 1
	.section	.text._ZN2at6native12_GLOBAL__N_126adaptive_average_gradinputIdEEvPT_PKS3_iiii,"axG",@progbits,_ZN2at6native12_GLOBAL__N_126adaptive_average_gradinputIdEEvPT_PKS3_iiii,comdat
	.globl	_ZN2at6native12_GLOBAL__N_126adaptive_average_gradinputIdEEvPT_PKS3_iiii ; -- Begin function _ZN2at6native12_GLOBAL__N_126adaptive_average_gradinputIdEEvPT_PKS3_iiii
	.p2align	8
	.type	_ZN2at6native12_GLOBAL__N_126adaptive_average_gradinputIdEEvPT_PKS3_iiii,@function
_ZN2at6native12_GLOBAL__N_126adaptive_average_gradinputIdEEvPT_PKS3_iiii: ; @_ZN2at6native12_GLOBAL__N_126adaptive_average_gradinputIdEEvPT_PKS3_iiii
; %bb.0:
	s_load_dword s2, s[4:5], 0x2c
	s_load_dwordx4 s[8:11], s[4:5], 0x10
	s_add_u32 s0, s4, 32
	s_addc_u32 s1, s5, 0
	s_waitcnt lgkmcnt(0)
	s_lshr_b32 s3, s2, 16
	s_mul_i32 s7, s7, s3
	v_add_u32_e32 v17, s7, v1
	v_cmp_gt_i32_e32 vcc, s8, v17
	s_and_saveexec_b64 s[12:13], vcc
	s_cbranch_execz .LBB13_28
; %bb.1:
	s_load_dwordx4 s[12:15], s[4:5], 0x0
	s_mul_i32 s4, s10, s6
	s_mul_i32 s4, s4, s11
	s_ashr_i32 s5, s4, 31
	s_lshl_b64 s[4:5], s[4:5], 3
	s_waitcnt lgkmcnt(0)
	s_add_u32 s33, s14, s4
	s_mul_i32 s4, s8, s6
	s_mul_i32 s4, s4, s9
	s_addc_u32 s36, s15, s5
	s_ashr_i32 s5, s4, 31
	s_load_dword s39, s[0:1], 0x4
	s_lshl_b64 s[0:1], s[4:5], 3
	s_add_u32 s37, s12, s0
	s_addc_u32 s38, s13, s1
	s_abs_i32 s41, s8
	v_cvt_f32_u32_e32 v1, s41
	s_abs_i32 s47, s9
	v_cvt_f32_u32_e32 v2, s47
	;; [unrolled: 2-line block ×3, first 2 shown]
	s_abs_i32 s52, s11
	v_rcp_iflag_f32_e32 v1, v1
	v_cvt_f32_u32_e32 v5, s52
	v_rcp_iflag_f32_e32 v2, v2
	v_rcp_iflag_f32_e32 v4, v4
	v_mul_f32_e32 v1, 0x4f7ffffe, v1
	v_rcp_iflag_f32_e32 v5, v5
	v_cvt_u32_f32_e32 v1, v1
	v_mul_f32_e32 v2, 0x4f7ffffe, v2
	v_cvt_u32_f32_e32 v2, v2
	v_mul_f32_e32 v4, 0x4f7ffffe, v4
	s_and_b32 s40, s2, 0xffff
	s_sub_i32 s2, 0, s41
	v_cvt_u32_f32_e32 v4, v4
	v_mul_f32_e32 v5, 0x4f7ffffe, v5
	v_mul_lo_u32 v3, s2, v1
	v_cvt_u32_f32_e32 v5, v5
	s_sub_i32 s2, 0, s47
	v_mul_lo_u32 v6, s2, v2
	s_sub_i32 s2, 0, s51
	v_mul_lo_u32 v7, s2, v4
	s_sub_i32 s2, 0, s52
	v_mul_hi_u32 v3, v1, v3
	v_mul_lo_u32 v8, s2, v5
	s_ashr_i32 s44, s8, 31
	s_waitcnt lgkmcnt(0)
	s_mul_i32 s39, s39, s3
	v_add_u32_e32 v18, v1, v3
	v_mul_hi_u32 v3, v2, v6
	v_mul_hi_u32 v6, v4, v7
	;; [unrolled: 1-line block ×3, first 2 shown]
	s_ashr_i32 s42, s10, 31
	s_mov_b32 s43, s10
	s_mov_b32 s45, s8
	v_cmp_gt_i32_e64 s[0:1], s9, v0
	s_ashr_i32 s46, s11, 31
	s_mov_b32 s48, s11
	s_ashr_i32 s49, s9, 31
	s_mov_b32 s50, s9
	v_mov_b32_e32 v1, 0
	v_add_u32_e32 v19, v2, v3
	v_add_u32_e32 v20, v4, v6
	;; [unrolled: 1-line block ×3, first 2 shown]
	s_sub_i32 s53, 0, s11
	s_mov_b64 s[12:13], 0
	s_ashr_i32 s14, s44, 31
	s_branch .LBB13_3
.LBB13_2:                               ;   in Loop: Header=BB13_3 Depth=1
	s_or_b64 exec, exec, s[16:17]
	v_add_u32_e32 v17, s39, v17
	v_cmp_le_i32_e32 vcc, s8, v17
	s_or_b64 s[12:13], vcc, s[12:13]
	s_andn2_b64 exec, exec, s[12:13]
	s_cbranch_execz .LBB13_28
.LBB13_3:                               ; =>This Loop Header: Depth=1
                                        ;     Child Loop BB13_10 Depth 2
                                        ;       Child Loop BB13_17 Depth 3
                                        ;         Child Loop BB13_24 Depth 4
	v_add_u32_e32 v2, 1, v17
	v_mad_i64_i32 v[3:4], s[2:3], v2, s43, -1
                                        ; implicit-def: $vgpr5_vgpr6
	v_or_b32_e32 v2, s44, v4
	v_cmp_ne_u64_e32 vcc, 0, v[1:2]
	s_and_saveexec_b64 s[2:3], vcc
	s_xor_b64 s[4:5], exec, s[2:3]
	s_cbranch_execnz .LBB13_6
; %bb.4:                                ;   in Loop: Header=BB13_3 Depth=1
	s_andn2_saveexec_b64 s[2:3], s[4:5]
	s_cbranch_execnz .LBB13_7
.LBB13_5:                               ;   in Loop: Header=BB13_3 Depth=1
	s_or_b64 exec, exec, s[2:3]
	s_and_saveexec_b64 s[16:17], s[0:1]
	s_cbranch_execz .LBB13_2
	s_branch .LBB13_8
.LBB13_6:                               ;   in Loop: Header=BB13_3 Depth=1
	s_add_u32 s2, s45, s14
	s_mov_b32 s15, s14
	s_addc_u32 s3, s44, s14
	s_xor_b64 s[6:7], s[2:3], s[14:15]
	v_cvt_f32_u32_e32 v2, s6
	v_cvt_f32_u32_e32 v5, s7
	s_sub_u32 s15, 0, s6
	s_subb_u32 s16, 0, s7
	v_ashrrev_i32_e32 v6, 31, v4
	v_mac_f32_e32 v2, 0x4f800000, v5
	v_rcp_f32_e32 v2, v2
	v_mul_f32_e32 v2, 0x5f7ffffc, v2
	v_mul_f32_e32 v5, 0x2f800000, v2
	v_trunc_f32_e32 v5, v5
	v_mac_f32_e32 v2, 0xcf800000, v5
	v_cvt_u32_f32_e32 v5, v5
	v_cvt_u32_f32_e32 v2, v2
	v_readfirstlane_b32 s17, v5
	v_readfirstlane_b32 s2, v2
	s_mul_i32 s3, s15, s17
	s_mul_hi_u32 s19, s15, s2
	s_mul_i32 s18, s16, s2
	s_add_i32 s3, s19, s3
	s_add_i32 s3, s3, s18
	s_mul_i32 s20, s15, s2
	s_mul_i32 s19, s2, s3
	s_mul_hi_u32 s21, s2, s20
	s_mul_hi_u32 s18, s2, s3
	s_add_u32 s19, s21, s19
	s_addc_u32 s18, 0, s18
	s_mul_hi_u32 s22, s17, s20
	s_mul_i32 s20, s17, s20
	s_add_u32 s19, s19, s20
	s_mul_hi_u32 s21, s17, s3
	s_addc_u32 s18, s18, s22
	s_addc_u32 s19, s21, 0
	s_mul_i32 s3, s17, s3
	s_add_u32 s3, s18, s3
	s_addc_u32 s18, 0, s19
	s_add_u32 s19, s2, s3
	s_cselect_b64 s[2:3], -1, 0
	s_cmp_lg_u64 s[2:3], 0
	s_addc_u32 s17, s17, s18
	s_mul_i32 s2, s15, s17
	s_mul_hi_u32 s3, s15, s19
	s_add_i32 s2, s3, s2
	s_mul_i32 s16, s16, s19
	s_add_i32 s2, s2, s16
	s_mul_i32 s15, s15, s19
	s_mul_hi_u32 s16, s17, s15
	s_mul_i32 s18, s17, s15
	s_mul_i32 s21, s19, s2
	s_mul_hi_u32 s15, s19, s15
	s_mul_hi_u32 s20, s19, s2
	s_add_u32 s15, s15, s21
	s_addc_u32 s20, 0, s20
	s_add_u32 s15, s15, s18
	s_mul_hi_u32 s3, s17, s2
	s_addc_u32 s15, s20, s16
	s_addc_u32 s3, s3, 0
	s_mul_i32 s2, s17, s2
	s_add_u32 s2, s15, s2
	s_addc_u32 s15, 0, s3
	s_add_u32 s16, s19, s2
	s_cselect_b64 s[2:3], -1, 0
	s_cmp_lg_u64 s[2:3], 0
	v_add_co_u32_e32 v2, vcc, v3, v6
	s_addc_u32 s15, s17, s15
	v_xor_b32_e32 v7, v2, v6
	v_mad_u64_u32 v[2:3], s[2:3], v7, s15, 0
	v_mul_hi_u32 v5, v7, s16
	v_addc_co_u32_e32 v4, vcc, v4, v6, vcc
	v_xor_b32_e32 v8, v4, v6
	v_add_co_u32_e32 v9, vcc, v5, v2
	v_addc_co_u32_e32 v10, vcc, 0, v3, vcc
	v_mad_u64_u32 v[2:3], s[2:3], v8, s16, 0
	v_mad_u64_u32 v[4:5], s[2:3], v8, s15, 0
	v_add_co_u32_e32 v2, vcc, v9, v2
	v_addc_co_u32_e32 v2, vcc, v10, v3, vcc
	v_addc_co_u32_e32 v3, vcc, 0, v5, vcc
	v_add_co_u32_e32 v4, vcc, v2, v4
	v_addc_co_u32_e32 v2, vcc, 0, v3, vcc
	v_mul_lo_u32 v5, s7, v4
	v_mul_lo_u32 v9, s6, v2
	v_mad_u64_u32 v[2:3], s[2:3], s6, v4, 0
	v_add3_u32 v3, v3, v9, v5
	v_sub_u32_e32 v5, v8, v3
	v_mov_b32_e32 v9, s7
	v_sub_co_u32_e32 v2, vcc, v7, v2
	v_subb_co_u32_e64 v5, s[2:3], v5, v9, vcc
	v_subrev_co_u32_e64 v7, s[2:3], s6, v2
	v_subbrev_co_u32_e64 v5, s[2:3], 0, v5, s[2:3]
	v_cmp_le_u32_e64 s[2:3], s7, v5
	v_subb_co_u32_e32 v3, vcc, v8, v3, vcc
	v_cndmask_b32_e64 v9, 0, -1, s[2:3]
	v_cmp_le_u32_e64 s[2:3], s6, v7
	v_cmp_le_u32_e32 vcc, s7, v3
	v_cndmask_b32_e64 v7, 0, -1, s[2:3]
	v_cmp_eq_u32_e64 s[2:3], s7, v5
	v_cndmask_b32_e64 v8, 0, -1, vcc
	v_cmp_le_u32_e32 vcc, s6, v2
	v_cndmask_b32_e64 v5, v9, v7, s[2:3]
	v_cndmask_b32_e64 v2, 0, -1, vcc
	v_cmp_eq_u32_e32 vcc, s7, v3
	v_add_co_u32_e64 v7, s[2:3], 2, v4
	v_add_co_u32_e64 v9, s[2:3], 1, v4
	v_cndmask_b32_e32 v2, v8, v2, vcc
	v_cmp_ne_u32_e32 vcc, 0, v5
	v_cndmask_b32_e32 v3, v9, v7, vcc
	v_cmp_ne_u32_e32 vcc, 0, v2
	v_cndmask_b32_e32 v2, v4, v3, vcc
	v_xor_b32_e32 v3, s14, v6
	v_xor_b32_e32 v2, v2, v3
	v_sub_co_u32_e32 v5, vcc, v2, v3
                                        ; implicit-def: $vgpr3_vgpr4
	s_andn2_saveexec_b64 s[2:3], s[4:5]
	s_cbranch_execz .LBB13_5
.LBB13_7:                               ;   in Loop: Header=BB13_3 Depth=1
	v_cvt_f32_u32_e32 v2, s45
	s_sub_i32 s4, 0, s45
	v_rcp_iflag_f32_e32 v2, v2
	v_mul_f32_e32 v2, 0x4f7ffffe, v2
	v_cvt_u32_f32_e32 v2, v2
	v_mul_lo_u32 v4, s4, v2
	v_mul_hi_u32 v4, v2, v4
	v_add_u32_e32 v2, v2, v4
	v_mul_hi_u32 v2, v3, v2
	v_mul_lo_u32 v4, v2, s45
	v_add_u32_e32 v5, 1, v2
	v_sub_u32_e32 v3, v3, v4
	v_subrev_u32_e32 v4, s45, v3
	v_cmp_le_u32_e32 vcc, s45, v3
	v_cndmask_b32_e32 v3, v3, v4, vcc
	v_cndmask_b32_e32 v2, v2, v5, vcc
	v_add_u32_e32 v4, 1, v2
	v_cmp_le_u32_e32 vcc, s45, v3
	v_cndmask_b32_e32 v5, v2, v4, vcc
	s_or_b64 exec, exec, s[2:3]
	s_and_saveexec_b64 s[16:17], s[0:1]
	s_cbranch_execz .LBB13_2
.LBB13_8:                               ;   in Loop: Header=BB13_3 Depth=1
	v_sub_u32_e32 v2, 0, v17
	v_max_i32_e32 v2, v17, v2
	v_mul_hi_u32 v3, v2, v18
	v_ashrrev_i32_e32 v6, 31, v17
	v_xor_b32_e32 v6, s44, v6
	v_add_u32_e32 v22, 1, v5
	v_mul_lo_u32 v4, v3, s41
	v_add_u32_e32 v7, 1, v3
	s_mov_b64 s[18:19], 0
	v_sub_u32_e32 v2, v2, v4
	v_cmp_le_u32_e32 vcc, s41, v2
	v_subrev_u32_e32 v4, s41, v2
	v_cndmask_b32_e32 v3, v3, v7, vcc
	v_cndmask_b32_e32 v2, v2, v4, vcc
	v_add_u32_e32 v4, 1, v3
	v_cmp_le_u32_e32 vcc, s41, v2
	v_cndmask_b32_e32 v2, v3, v4, vcc
	v_xor_b32_e32 v2, v2, v6
	v_sub_u32_e32 v3, v2, v6
	v_mul_lo_u32 v2, v3, s8
	v_mul_lo_u32 v6, v17, s9
	v_sub_u32_e32 v2, v17, v2
	v_mul_lo_u32 v2, v2, s10
	v_ashrrev_i32_e32 v7, 31, v6
	v_sub_u32_e32 v4, 0, v2
	v_max_i32_e32 v4, v2, v4
	v_mul_hi_u32 v8, v4, v18
	v_ashrrev_i32_e32 v2, 31, v2
	v_xor_b32_e32 v2, s44, v2
	v_mul_lo_u32 v5, v8, s41
	v_add_u32_e32 v9, 1, v8
	v_sub_u32_e32 v4, v4, v5
	v_cmp_le_u32_e32 vcc, s41, v4
	v_cndmask_b32_e32 v5, v8, v9, vcc
	v_subrev_u32_e32 v8, s41, v4
	v_cndmask_b32_e32 v4, v4, v8, vcc
	v_add_u32_e32 v8, 1, v5
	v_cmp_le_u32_e32 vcc, s41, v4
	v_cndmask_b32_e32 v4, v5, v8, vcc
	v_xor_b32_e32 v4, v4, v2
	v_sub_u32_e32 v2, v4, v2
	v_mad_u64_u32 v[3:4], s[2:3], v3, s10, v[2:3]
	v_lshlrev_b64 v[4:5], 3, v[6:7]
	v_mov_b32_e32 v2, s38
	v_mul_lo_u32 v25, s11, v3
	v_add_co_u32_e32 v23, vcc, s37, v4
	v_addc_co_u32_e32 v24, vcc, v2, v5, vcc
	v_cmp_lt_i32_e64 s[2:3], v3, v22
	v_mov_b32_e32 v4, v0
	s_branch .LBB13_10
.LBB13_9:                               ;   in Loop: Header=BB13_10 Depth=2
	s_or_b64 exec, exec, s[20:21]
	v_add_u32_e32 v4, s40, v4
	v_cmp_le_i32_e32 vcc, s9, v4
	s_or_b64 s[18:19], vcc, s[18:19]
	s_andn2_b64 exec, exec, s[18:19]
	s_cbranch_execz .LBB13_2
.LBB13_10:                              ;   Parent Loop BB13_3 Depth=1
                                        ; =>  This Loop Header: Depth=2
                                        ;       Child Loop BB13_17 Depth 3
                                        ;         Child Loop BB13_24 Depth 4
	v_add_u32_e32 v7, 1, v4
	v_mad_u64_u32 v[5:6], s[4:5], v7, s48, -1
	v_mov_b32_e32 v2, v6
	v_mad_u64_u32 v[6:7], s[4:5], v7, s46, v[2:3]
                                        ; implicit-def: $vgpr7_vgpr8
	v_or_b32_e32 v2, s49, v6
	v_cmp_ne_u64_e32 vcc, 0, v[1:2]
	v_mov_b32_e32 v2, v6
	s_and_saveexec_b64 s[4:5], vcc
	s_xor_b64 s[6:7], exec, s[4:5]
	s_cbranch_execnz .LBB13_13
; %bb.11:                               ;   in Loop: Header=BB13_10 Depth=2
	s_andn2_saveexec_b64 s[4:5], s[6:7]
	s_cbranch_execnz .LBB13_14
.LBB13_12:                              ;   in Loop: Header=BB13_10 Depth=2
	s_or_b64 exec, exec, s[4:5]
	v_mov_b32_e32 v5, v1
	s_and_saveexec_b64 s[20:21], s[2:3]
	s_cbranch_execz .LBB13_9
	s_branch .LBB13_15
.LBB13_13:                              ;   in Loop: Header=BB13_10 Depth=2
	s_ashr_i32 s20, s49, 31
	s_add_u32 s4, s50, s20
	s_mov_b32 s21, s20
	s_addc_u32 s5, s49, s20
	s_xor_b64 s[22:23], s[4:5], s[20:21]
	v_cvt_f32_u32_e32 v6, s22
	v_cvt_f32_u32_e32 v7, s23
	s_sub_u32 s15, 0, s22
	s_subb_u32 s21, 0, s23
	v_ashrrev_i32_e32 v9, 31, v2
	v_mac_f32_e32 v6, 0x4f800000, v7
	v_rcp_f32_e32 v6, v6
	v_add_co_u32_e32 v5, vcc, v5, v9
	v_xor_b32_e32 v10, v5, v9
	v_mul_f32_e32 v6, 0x5f7ffffc, v6
	v_mul_f32_e32 v7, 0x2f800000, v6
	v_trunc_f32_e32 v7, v7
	v_mac_f32_e32 v6, 0xcf800000, v7
	v_cvt_u32_f32_e32 v7, v7
	v_cvt_u32_f32_e32 v6, v6
	v_addc_co_u32_e32 v2, vcc, v2, v9, vcc
	v_readfirstlane_b32 s24, v7
	v_readfirstlane_b32 s4, v6
	s_mul_i32 s5, s15, s24
	s_mul_hi_u32 s26, s15, s4
	s_mul_i32 s25, s21, s4
	s_add_i32 s5, s26, s5
	s_add_i32 s5, s5, s25
	s_mul_i32 s27, s15, s4
	s_mul_i32 s26, s4, s5
	s_mul_hi_u32 s28, s4, s27
	s_mul_hi_u32 s25, s4, s5
	s_add_u32 s26, s28, s26
	s_addc_u32 s25, 0, s25
	s_mul_hi_u32 s29, s24, s27
	s_mul_i32 s27, s24, s27
	s_add_u32 s26, s26, s27
	s_mul_hi_u32 s28, s24, s5
	s_addc_u32 s25, s25, s29
	s_addc_u32 s26, s28, 0
	s_mul_i32 s5, s24, s5
	s_add_u32 s5, s25, s5
	s_addc_u32 s25, 0, s26
	s_add_u32 s26, s4, s5
	s_cselect_b64 s[4:5], -1, 0
	s_cmp_lg_u64 s[4:5], 0
	s_addc_u32 s24, s24, s25
	s_mul_i32 s4, s15, s24
	s_mul_hi_u32 s5, s15, s26
	s_add_i32 s4, s5, s4
	s_mul_i32 s21, s21, s26
	s_add_i32 s4, s4, s21
	s_mul_i32 s15, s15, s26
	s_mul_hi_u32 s21, s24, s15
	s_mul_i32 s25, s24, s15
	s_mul_i32 s28, s26, s4
	s_mul_hi_u32 s15, s26, s15
	s_mul_hi_u32 s27, s26, s4
	s_add_u32 s15, s15, s28
	s_addc_u32 s27, 0, s27
	s_add_u32 s15, s15, s25
	s_mul_hi_u32 s5, s24, s4
	s_addc_u32 s15, s27, s21
	s_addc_u32 s5, s5, 0
	s_mul_i32 s4, s24, s4
	s_add_u32 s4, s15, s4
	s_addc_u32 s15, 0, s5
	s_add_u32 s21, s26, s4
	s_cselect_b64 s[4:5], -1, 0
	s_cmp_lg_u64 s[4:5], 0
	s_addc_u32 s15, s24, s15
	v_mad_u64_u32 v[5:6], s[4:5], v10, s15, 0
	v_mul_hi_u32 v7, v10, s21
	v_xor_b32_e32 v2, v2, v9
	v_add_co_u32_e32 v11, vcc, v7, v5
	v_addc_co_u32_e32 v12, vcc, 0, v6, vcc
	v_mad_u64_u32 v[5:6], s[4:5], v2, s21, 0
	v_mad_u64_u32 v[7:8], s[4:5], v2, s15, 0
	v_add_co_u32_e32 v5, vcc, v11, v5
	v_addc_co_u32_e32 v5, vcc, v12, v6, vcc
	v_addc_co_u32_e32 v6, vcc, 0, v8, vcc
	v_add_co_u32_e32 v7, vcc, v5, v7
	v_addc_co_u32_e32 v5, vcc, 0, v6, vcc
	v_mul_lo_u32 v8, s23, v7
	v_mul_lo_u32 v11, s22, v5
	v_mad_u64_u32 v[5:6], s[4:5], s22, v7, 0
	v_add3_u32 v6, v6, v11, v8
	v_sub_u32_e32 v8, v2, v6
	v_mov_b32_e32 v11, s23
	v_sub_co_u32_e32 v5, vcc, v10, v5
	v_subb_co_u32_e64 v8, s[4:5], v8, v11, vcc
	v_subrev_co_u32_e64 v10, s[4:5], s22, v5
	v_subbrev_co_u32_e64 v8, s[4:5], 0, v8, s[4:5]
	v_cmp_le_u32_e64 s[4:5], s23, v8
	v_subb_co_u32_e32 v2, vcc, v2, v6, vcc
	v_cndmask_b32_e64 v11, 0, -1, s[4:5]
	v_cmp_le_u32_e64 s[4:5], s22, v10
	v_cmp_le_u32_e32 vcc, s23, v2
	v_cndmask_b32_e64 v10, 0, -1, s[4:5]
	v_cmp_eq_u32_e64 s[4:5], s23, v8
	v_cndmask_b32_e64 v6, 0, -1, vcc
	v_cmp_le_u32_e32 vcc, s22, v5
	v_cndmask_b32_e64 v8, v11, v10, s[4:5]
	v_cndmask_b32_e64 v5, 0, -1, vcc
	v_cmp_eq_u32_e32 vcc, s23, v2
	v_add_co_u32_e64 v10, s[4:5], 2, v7
	v_add_co_u32_e64 v11, s[4:5], 1, v7
	v_cndmask_b32_e32 v2, v6, v5, vcc
	v_cmp_ne_u32_e32 vcc, 0, v8
	v_cndmask_b32_e32 v5, v11, v10, vcc
	v_cmp_ne_u32_e32 vcc, 0, v2
	v_cndmask_b32_e32 v2, v7, v5, vcc
	v_xor_b32_e32 v5, s20, v9
	v_xor_b32_e32 v2, v2, v5
	v_sub_co_u32_e32 v7, vcc, v2, v5
                                        ; implicit-def: $vgpr5_vgpr6
	s_andn2_saveexec_b64 s[4:5], s[6:7]
	s_cbranch_execz .LBB13_12
.LBB13_14:                              ;   in Loop: Header=BB13_10 Depth=2
	v_cvt_f32_u32_e32 v2, s50
	s_sub_i32 s6, 0, s50
	v_rcp_iflag_f32_e32 v2, v2
	v_mul_f32_e32 v2, 0x4f7ffffe, v2
	v_cvt_u32_f32_e32 v2, v2
	v_mul_lo_u32 v6, s6, v2
	v_mul_hi_u32 v6, v2, v6
	v_add_u32_e32 v2, v2, v6
	v_mul_hi_u32 v2, v5, v2
	v_mul_lo_u32 v6, v2, s50
	v_add_u32_e32 v7, 1, v2
	v_sub_u32_e32 v5, v5, v6
	v_subrev_u32_e32 v6, s50, v5
	v_cmp_le_u32_e32 vcc, s50, v5
	v_cndmask_b32_e32 v5, v5, v6, vcc
	v_cndmask_b32_e32 v2, v2, v7, vcc
	v_add_u32_e32 v6, 1, v2
	v_cmp_le_u32_e32 vcc, s50, v5
	v_cndmask_b32_e32 v7, v2, v6, vcc
	s_or_b64 exec, exec, s[4:5]
	v_mov_b32_e32 v5, v1
	s_and_saveexec_b64 s[20:21], s[2:3]
	s_cbranch_execz .LBB13_9
.LBB13_15:                              ;   in Loop: Header=BB13_10 Depth=2
	v_mul_hi_u32 v2, v4, v19
	v_add_u32_e32 v26, 1, v7
	v_lshlrev_b64 v[7:8], 3, v[4:5]
	v_mul_lo_u32 v5, v4, s11
	v_mul_lo_u32 v6, v2, s47
	v_add_u32_e32 v9, 1, v2
	s_mov_b64 s[22:23], 0
	v_sub_u32_e32 v10, 0, v5
	v_max_i32_e32 v10, v5, v10
	v_sub_u32_e32 v6, v4, v6
	v_mul_hi_u32 v11, v10, v19
	v_cmp_le_u32_e32 vcc, s47, v6
	v_cndmask_b32_e32 v2, v2, v9, vcc
	v_subrev_u32_e32 v9, s47, v6
	v_cndmask_b32_e32 v6, v6, v9, vcc
	v_cmp_le_u32_e32 vcc, s47, v6
	v_mul_lo_u32 v6, v11, s47
	v_add_u32_e32 v9, 1, v2
	v_cndmask_b32_e32 v2, v2, v9, vcc
	v_xor_b32_e32 v2, s49, v2
	v_subrev_u32_e32 v9, s49, v2
	v_ashrrev_i32_e32 v2, 31, v5
	v_sub_u32_e32 v5, v10, v6
	v_add_u32_e32 v6, 1, v11
	v_cmp_le_u32_e32 vcc, s47, v5
	v_subrev_u32_e32 v10, s47, v5
	v_cndmask_b32_e32 v6, v11, v6, vcc
	v_cndmask_b32_e32 v5, v5, v10, vcc
	v_add_u32_e32 v10, 1, v6
	v_cmp_le_u32_e32 vcc, s47, v5
	v_xor_b32_e32 v2, s49, v2
	v_cndmask_b32_e32 v5, v6, v10, vcc
	v_xor_b32_e32 v5, v5, v2
	v_sub_u32_e32 v2, v5, v2
	v_mad_u64_u32 v[5:6], s[4:5], v9, s11, v[2:3]
	v_add_co_u32_e32 v6, vcc, v23, v7
	v_addc_co_u32_e32 v7, vcc, v24, v8, vcc
	v_cmp_lt_i32_e64 s[4:5], v5, v26
	v_mov_b32_e32 v27, v25
	v_mov_b32_e32 v12, v3
	s_branch .LBB13_17
.LBB13_16:                              ;   in Loop: Header=BB13_17 Depth=3
	s_or_b64 exec, exec, s[24:25]
	v_cmp_ge_i32_e32 vcc, v28, v22
	v_add_u32_e32 v27, s11, v27
	s_or_b64 s[22:23], vcc, s[22:23]
	v_mov_b32_e32 v12, v28
	s_andn2_b64 exec, exec, s[22:23]
	s_cbranch_execz .LBB13_9
.LBB13_17:                              ;   Parent Loop BB13_3 Depth=1
                                        ;     Parent Loop BB13_10 Depth=2
                                        ; =>    This Loop Header: Depth=3
                                        ;         Child Loop BB13_24 Depth 4
	v_add_u32_e32 v28, 1, v12
	s_and_saveexec_b64 s[24:25], s[4:5]
	s_cbranch_execz .LBB13_16
; %bb.18:                               ;   in Loop: Header=BB13_17 Depth=3
	v_mad_i64_i32 v[8:9], s[6:7], v28, s45, -1
                                        ; implicit-def: $vgpr10_vgpr11
	v_or_b32_e32 v2, s42, v9
	v_cmp_ne_u64_e32 vcc, 0, v[1:2]
	s_and_saveexec_b64 s[6:7], vcc
	s_xor_b64 s[26:27], exec, s[6:7]
	s_cbranch_execz .LBB13_20
; %bb.19:                               ;   in Loop: Header=BB13_17 Depth=3
	s_ashr_i32 s28, s42, 31
	s_add_u32 s6, s43, s28
	s_mov_b32 s29, s28
	s_addc_u32 s7, s42, s28
	s_xor_b64 s[30:31], s[6:7], s[28:29]
	v_cvt_f32_u32_e32 v2, s30
	v_cvt_f32_u32_e32 v10, s31
	s_sub_u32 s15, 0, s30
	s_subb_u32 s29, 0, s31
	v_mac_f32_e32 v2, 0x4f800000, v10
	v_rcp_f32_e32 v2, v2
	v_mul_f32_e32 v2, 0x5f7ffffc, v2
	v_mul_f32_e32 v10, 0x2f800000, v2
	v_trunc_f32_e32 v10, v10
	v_mac_f32_e32 v2, 0xcf800000, v10
	v_cvt_u32_f32_e32 v10, v10
	v_cvt_u32_f32_e32 v2, v2
	v_readfirstlane_b32 s34, v10
	v_readfirstlane_b32 s6, v2
	s_mul_i32 s7, s15, s34
	s_mul_hi_u32 s54, s15, s6
	s_mul_i32 s35, s29, s6
	s_add_i32 s7, s54, s7
	s_add_i32 s7, s7, s35
	s_mul_i32 s55, s15, s6
	s_mul_i32 s54, s6, s7
	s_mul_hi_u32 s56, s6, s55
	s_mul_hi_u32 s35, s6, s7
	s_add_u32 s54, s56, s54
	s_addc_u32 s35, 0, s35
	s_mul_hi_u32 s57, s34, s55
	s_mul_i32 s55, s34, s55
	s_add_u32 s54, s54, s55
	s_mul_hi_u32 s56, s34, s7
	s_addc_u32 s35, s35, s57
	s_addc_u32 s54, s56, 0
	s_mul_i32 s7, s34, s7
	s_add_u32 s7, s35, s7
	s_addc_u32 s35, 0, s54
	s_add_u32 s54, s6, s7
	s_cselect_b64 s[6:7], -1, 0
	s_cmp_lg_u64 s[6:7], 0
	s_addc_u32 s34, s34, s35
	s_mul_i32 s6, s15, s34
	s_mul_hi_u32 s7, s15, s54
	s_add_i32 s6, s7, s6
	s_mul_i32 s29, s29, s54
	s_add_i32 s6, s6, s29
	s_mul_i32 s15, s15, s54
	s_mul_hi_u32 s29, s34, s15
	s_mul_i32 s35, s34, s15
	s_mul_i32 s56, s54, s6
	s_mul_hi_u32 s15, s54, s15
	s_mul_hi_u32 s55, s54, s6
	s_add_u32 s15, s15, s56
	s_addc_u32 s55, 0, s55
	s_add_u32 s15, s15, s35
	s_mul_hi_u32 s7, s34, s6
	s_addc_u32 s15, s55, s29
	s_addc_u32 s7, s7, 0
	s_mul_i32 s6, s34, s6
	s_add_u32 s6, s15, s6
	s_addc_u32 s15, 0, s7
	s_add_u32 s29, s54, s6
	s_cselect_b64 s[6:7], -1, 0
	v_ashrrev_i32_e32 v2, 31, v9
	s_cmp_lg_u64 s[6:7], 0
	v_add_co_u32_e32 v8, vcc, v8, v2
	s_addc_u32 s15, s34, s15
	v_xor_b32_e32 v13, v8, v2
	v_addc_co_u32_e32 v10, vcc, v9, v2, vcc
	v_mad_u64_u32 v[8:9], s[6:7], v13, s15, 0
	v_mul_hi_u32 v11, v13, s29
	v_xor_b32_e32 v14, v10, v2
	v_xor_b32_e32 v2, s28, v2
	v_add_co_u32_e32 v15, vcc, v11, v8
	v_addc_co_u32_e32 v16, vcc, 0, v9, vcc
	v_mad_u64_u32 v[8:9], s[6:7], v14, s29, 0
	v_mad_u64_u32 v[10:11], s[6:7], v14, s15, 0
	v_add_co_u32_e32 v8, vcc, v15, v8
	v_addc_co_u32_e32 v8, vcc, v16, v9, vcc
	v_addc_co_u32_e32 v9, vcc, 0, v11, vcc
	v_add_co_u32_e32 v10, vcc, v8, v10
	v_addc_co_u32_e32 v8, vcc, 0, v9, vcc
	v_mul_lo_u32 v11, s31, v10
	v_mul_lo_u32 v15, s30, v8
	v_mad_u64_u32 v[8:9], s[6:7], s30, v10, 0
	v_add3_u32 v9, v9, v15, v11
	v_sub_u32_e32 v11, v14, v9
	v_mov_b32_e32 v15, s31
	v_sub_co_u32_e32 v8, vcc, v13, v8
	v_subb_co_u32_e64 v11, s[6:7], v11, v15, vcc
	v_subrev_co_u32_e64 v13, s[6:7], s30, v8
	v_subbrev_co_u32_e64 v11, s[6:7], 0, v11, s[6:7]
	v_cmp_le_u32_e64 s[6:7], s31, v11
	v_subb_co_u32_e32 v9, vcc, v14, v9, vcc
	v_cndmask_b32_e64 v15, 0, -1, s[6:7]
	v_cmp_le_u32_e64 s[6:7], s30, v13
	v_cmp_le_u32_e32 vcc, s31, v9
	v_cndmask_b32_e64 v13, 0, -1, s[6:7]
	v_cmp_eq_u32_e64 s[6:7], s31, v11
	v_cndmask_b32_e64 v14, 0, -1, vcc
	v_cmp_le_u32_e32 vcc, s30, v8
	v_cndmask_b32_e64 v11, v15, v13, s[6:7]
	v_cndmask_b32_e64 v8, 0, -1, vcc
	v_cmp_eq_u32_e32 vcc, s31, v9
	v_add_co_u32_e64 v13, s[6:7], 2, v10
	v_add_co_u32_e64 v15, s[6:7], 1, v10
	v_cndmask_b32_e32 v8, v14, v8, vcc
	v_cmp_ne_u32_e32 vcc, 0, v11
	v_cndmask_b32_e32 v9, v15, v13, vcc
	v_cmp_ne_u32_e32 vcc, 0, v8
	v_cndmask_b32_e32 v8, v10, v9, vcc
	v_xor_b32_e32 v8, v8, v2
	v_sub_co_u32_e32 v10, vcc, v8, v2
                                        ; implicit-def: $vgpr8_vgpr9
.LBB13_20:                              ;   in Loop: Header=BB13_17 Depth=3
	s_andn2_saveexec_b64 s[26:27], s[26:27]
	s_cbranch_execz .LBB13_22
; %bb.21:                               ;   in Loop: Header=BB13_17 Depth=3
	v_cvt_f32_u32_e32 v2, s43
	s_sub_i32 s6, 0, s43
	v_rcp_iflag_f32_e32 v2, v2
	v_mul_f32_e32 v2, 0x4f7ffffe, v2
	v_cvt_u32_f32_e32 v2, v2
	v_mul_lo_u32 v9, s6, v2
	v_mul_hi_u32 v9, v2, v9
	v_add_u32_e32 v2, v2, v9
	v_mul_hi_u32 v2, v8, v2
	v_mul_lo_u32 v9, v2, s43
	v_sub_u32_e32 v8, v8, v9
	v_cmp_le_u32_e32 vcc, s43, v8
	v_subrev_u32_e32 v9, s43, v8
	v_cndmask_b32_e32 v8, v8, v9, vcc
	v_cmp_le_u32_e64 s[6:7], s43, v8
	v_add_u32_e32 v8, 1, v2
	v_cndmask_b32_e32 v2, v2, v8, vcc
	v_add_u32_e32 v8, 1, v2
	v_cndmask_b32_e64 v10, v2, v8, s[6:7]
.LBB13_22:                              ;   in Loop: Header=BB13_17 Depth=3
	s_or_b64 exec, exec, s[26:27]
	global_load_dwordx2 v[8:9], v[6:7], off
	v_sub_u32_e32 v2, 0, v12
	v_max_i32_e32 v2, v12, v2
	v_mul_hi_u32 v11, v2, v20
	v_ashrrev_i32_e32 v14, 31, v12
	v_xor_b32_e32 v14, s42, v14
	v_not_b32_e32 v10, v10
	v_mul_lo_u32 v13, v11, s51
	s_mov_b64 s[26:27], 0
	v_sub_u32_e32 v2, v2, v13
	v_add_u32_e32 v13, 1, v11
	v_cmp_le_u32_e32 vcc, s51, v2
	v_cndmask_b32_e32 v11, v11, v13, vcc
	v_subrev_u32_e32 v13, s51, v2
	v_cndmask_b32_e32 v2, v2, v13, vcc
	v_add_u32_e32 v13, 1, v11
	v_cmp_le_u32_e32 vcc, s51, v2
	v_cndmask_b32_e32 v2, v11, v13, vcc
	v_xor_b32_e32 v2, v2, v14
	v_sub_u32_e32 v2, v2, v14
	v_mul_lo_u32 v11, v2, s10
	v_mul_lo_u32 v2, v2, s8
	v_sub_u32_e32 v11, v12, v11
	v_mul_lo_u32 v11, v11, s8
	v_sub_u32_e32 v12, 0, v11
	v_max_i32_e32 v12, v11, v12
	v_mul_hi_u32 v13, v12, v20
	v_ashrrev_i32_e32 v11, 31, v11
	v_xor_b32_e32 v11, s42, v11
	v_mul_lo_u32 v14, v13, s51
	v_sub_u32_e32 v12, v12, v14
	v_add_u32_e32 v14, 1, v13
	v_cmp_le_u32_e32 vcc, s51, v12
	v_cndmask_b32_e32 v13, v13, v14, vcc
	v_subrev_u32_e32 v14, s51, v12
	v_cndmask_b32_e32 v12, v12, v14, vcc
	v_add_u32_e32 v14, 1, v13
	v_cmp_le_u32_e32 vcc, s51, v12
	v_cndmask_b32_e32 v12, v13, v14, vcc
	v_xor_b32_e32 v12, v12, v11
	v_sub_u32_e32 v11, v12, v11
	v_add3_u32 v2, v11, v2, v10
	v_cvt_f64_i32_e32 v[10:11], v2
	v_add_u32_e32 v2, 1, v5
	v_mad_i64_i32 v[12:13], s[6:7], s50, v2, -1
	v_mov_b32_e32 v14, v5
	s_branch .LBB13_24
.LBB13_23:                              ;   in Loop: Header=BB13_24 Depth=4
	s_or_b64 exec, exec, s[6:7]
	v_sub_u32_e32 v16, 0, v14
	v_max_i32_e32 v16, v14, v16
	v_mul_hi_u32 v29, v16, v21
	v_ashrrev_i32_e32 v2, 31, v14
	v_xor_b32_e32 v2, s46, v2
	v_mul_lo_u32 v30, v29, s52
	v_sub_u32_e32 v16, v16, v30
	v_cmp_le_u32_e32 vcc, s52, v16
	v_add_u32_e32 v30, 1, v29
	v_cndmask_b32_e32 v29, v29, v30, vcc
	v_subrev_u32_e32 v30, s52, v16
	v_cndmask_b32_e32 v16, v16, v30, vcc
	v_cmp_le_u32_e32 vcc, s52, v16
	v_add_u32_e32 v16, 1, v29
	v_cndmask_b32_e32 v16, v29, v16, vcc
	v_xor_b32_e32 v16, v16, v2
	v_sub_u32_e32 v2, v16, v2
	v_mad_u64_u32 v[29:30], s[6:7], s53, v2, v[14:15]
	v_mul_lo_u32 v16, v2, s9
	v_not_b32_e32 v15, v15
	v_mul_lo_u32 v2, v29, s9
	v_sub_u32_e32 v30, 0, v2
	v_ashrrev_i32_e32 v29, 31, v2
	v_max_i32_e32 v2, v2, v30
	v_mul_hi_u32 v30, v2, v21
	v_xor_b32_e32 v29, s46, v29
	v_mul_lo_u32 v31, v30, s52
	v_sub_u32_e32 v2, v2, v31
	v_cmp_le_u32_e32 vcc, s52, v2
	v_add_u32_e32 v31, 1, v30
	v_cndmask_b32_e32 v30, v30, v31, vcc
	v_subrev_u32_e32 v31, s52, v2
	v_cndmask_b32_e32 v2, v2, v31, vcc
	v_cmp_le_u32_e32 vcc, s52, v2
	v_add_u32_e32 v2, 1, v30
	v_cndmask_b32_e32 v2, v30, v2, vcc
	v_xor_b32_e32 v2, v2, v29
	v_sub_u32_e32 v29, v2, v29
	v_add_u32_e32 v2, 1, v14
	v_add_u32_e32 v14, v27, v14
	v_add3_u32 v16, v29, v16, v15
	v_ashrrev_i32_e32 v15, 31, v14
	v_lshlrev_b64 v[14:15], 3, v[14:15]
	v_mov_b32_e32 v29, s36
	v_add_co_u32_e32 v14, vcc, s33, v14
	v_addc_co_u32_e32 v15, vcc, v29, v15, vcc
	global_load_dwordx2 v[14:15], v[14:15], off
	s_waitcnt vmcnt(0)
	v_div_scale_f64 v[29:30], s[6:7], v[10:11], v[10:11], v[14:15]
	v_rcp_f64_e32 v[31:32], v[29:30]
	v_fma_f64 v[33:34], -v[29:30], v[31:32], 1.0
	v_fma_f64 v[31:32], v[31:32], v[33:34], v[31:32]
	v_fma_f64 v[33:34], -v[29:30], v[31:32], 1.0
	v_fma_f64 v[31:32], v[31:32], v[33:34], v[31:32]
	v_div_scale_f64 v[33:34], vcc, v[14:15], v[10:11], v[14:15]
	v_mul_f64 v[35:36], v[33:34], v[31:32]
	v_fma_f64 v[29:30], -v[29:30], v[35:36], v[33:34]
	s_nop 1
	v_div_fmas_f64 v[29:30], v[29:30], v[31:32], v[35:36]
	v_div_fixup_f64 v[14:15], v[29:30], v[10:11], v[14:15]
	v_cvt_f64_i32_e32 v[29:30], v16
	v_div_scale_f64 v[31:32], s[6:7], v[29:30], v[29:30], v[14:15]
	v_rcp_f64_e32 v[33:34], v[31:32]
	v_fma_f64 v[35:36], -v[31:32], v[33:34], 1.0
	v_fma_f64 v[33:34], v[33:34], v[35:36], v[33:34]
	v_fma_f64 v[35:36], -v[31:32], v[33:34], 1.0
	v_fma_f64 v[33:34], v[33:34], v[35:36], v[33:34]
	v_div_scale_f64 v[35:36], vcc, v[14:15], v[29:30], v[14:15]
	v_mul_f64 v[37:38], v[35:36], v[33:34]
	v_fma_f64 v[31:32], -v[31:32], v[37:38], v[35:36]
	s_nop 1
	v_div_fmas_f64 v[31:32], v[31:32], v[33:34], v[37:38]
	v_add_co_u32_e32 v12, vcc, s50, v12
	v_div_fixup_f64 v[14:15], v[31:32], v[29:30], v[14:15]
	v_add_f64 v[8:9], v[8:9], v[14:15]
	v_mov_b32_e32 v14, s49
	v_addc_co_u32_e32 v13, vcc, v13, v14, vcc
	v_cmp_ge_i32_e32 vcc, v2, v26
	s_or_b64 s[26:27], vcc, s[26:27]
	v_mov_b32_e32 v14, v2
	global_store_dwordx2 v[6:7], v[8:9], off
	s_andn2_b64 exec, exec, s[26:27]
	s_cbranch_execz .LBB13_16
.LBB13_24:                              ;   Parent Loop BB13_3 Depth=1
                                        ;     Parent Loop BB13_10 Depth=2
                                        ;       Parent Loop BB13_17 Depth=3
                                        ; =>      This Inner Loop Header: Depth=4
	v_or_b32_e32 v2, s46, v13
	v_cmp_ne_u64_e32 vcc, 0, v[1:2]
                                        ; implicit-def: $vgpr15_vgpr16
	s_and_saveexec_b64 s[6:7], vcc
	s_xor_b64 s[28:29], exec, s[6:7]
	s_cbranch_execz .LBB13_26
; %bb.25:                               ;   in Loop: Header=BB13_24 Depth=4
	s_ashr_i32 s30, s46, 31
	s_add_u32 s6, s48, s30
	s_mov_b32 s31, s30
	s_addc_u32 s7, s46, s30
	s_xor_b64 s[34:35], s[6:7], s[30:31]
	v_cvt_f32_u32_e32 v2, s34
	v_cvt_f32_u32_e32 v15, s35
	s_sub_u32 s15, 0, s34
	s_subb_u32 s31, 0, s35
	v_mac_f32_e32 v2, 0x4f800000, v15
	v_rcp_f32_e32 v2, v2
	v_mul_f32_e32 v2, 0x5f7ffffc, v2
	v_mul_f32_e32 v15, 0x2f800000, v2
	v_trunc_f32_e32 v15, v15
	v_mac_f32_e32 v2, 0xcf800000, v15
	v_cvt_u32_f32_e32 v15, v15
	v_cvt_u32_f32_e32 v2, v2
	v_readfirstlane_b32 s54, v15
	v_readfirstlane_b32 s6, v2
	s_mul_i32 s7, s15, s54
	s_mul_hi_u32 s56, s15, s6
	s_mul_i32 s55, s31, s6
	s_add_i32 s7, s56, s7
	s_add_i32 s7, s7, s55
	s_mul_i32 s57, s15, s6
	s_mul_i32 s56, s6, s7
	s_mul_hi_u32 s58, s6, s57
	s_mul_hi_u32 s55, s6, s7
	s_add_u32 s56, s58, s56
	s_addc_u32 s55, 0, s55
	s_mul_hi_u32 s59, s54, s57
	s_mul_i32 s57, s54, s57
	s_add_u32 s56, s56, s57
	s_mul_hi_u32 s58, s54, s7
	s_addc_u32 s55, s55, s59
	s_addc_u32 s56, s58, 0
	s_mul_i32 s7, s54, s7
	s_add_u32 s7, s55, s7
	s_addc_u32 s55, 0, s56
	s_add_u32 s56, s6, s7
	s_cselect_b64 s[6:7], -1, 0
	s_cmp_lg_u64 s[6:7], 0
	s_addc_u32 s54, s54, s55
	s_mul_i32 s6, s15, s54
	s_mul_hi_u32 s7, s15, s56
	s_add_i32 s6, s7, s6
	s_mul_i32 s31, s31, s56
	s_add_i32 s6, s6, s31
	s_mul_i32 s15, s15, s56
	s_mul_hi_u32 s31, s54, s15
	s_mul_i32 s55, s54, s15
	s_mul_i32 s58, s56, s6
	s_mul_hi_u32 s15, s56, s15
	s_mul_hi_u32 s57, s56, s6
	s_add_u32 s15, s15, s58
	s_addc_u32 s57, 0, s57
	s_add_u32 s15, s15, s55
	s_mul_hi_u32 s7, s54, s6
	s_addc_u32 s15, s57, s31
	s_addc_u32 s7, s7, 0
	s_mul_i32 s6, s54, s6
	s_add_u32 s6, s15, s6
	s_addc_u32 s15, 0, s7
	s_add_u32 s31, s56, s6
	s_cselect_b64 s[6:7], -1, 0
	v_ashrrev_i32_e32 v2, 31, v13
	s_cmp_lg_u64 s[6:7], 0
	v_add_co_u32_e32 v15, vcc, v12, v2
	s_addc_u32 s15, s54, s15
	v_xor_b32_e32 v31, v15, v2
	v_mad_u64_u32 v[15:16], s[6:7], v31, s15, 0
	v_mul_hi_u32 v30, v31, s31
	v_addc_co_u32_e32 v29, vcc, v13, v2, vcc
	v_xor_b32_e32 v32, v29, v2
	v_add_co_u32_e32 v33, vcc, v30, v15
	v_addc_co_u32_e32 v34, vcc, 0, v16, vcc
	v_mad_u64_u32 v[15:16], s[6:7], v32, s31, 0
	v_mad_u64_u32 v[29:30], s[6:7], v32, s15, 0
	v_add_co_u32_e32 v15, vcc, v33, v15
	v_addc_co_u32_e32 v15, vcc, v34, v16, vcc
	v_addc_co_u32_e32 v16, vcc, 0, v30, vcc
	v_add_co_u32_e32 v29, vcc, v15, v29
	v_addc_co_u32_e32 v15, vcc, 0, v16, vcc
	v_mul_lo_u32 v30, s35, v29
	v_mul_lo_u32 v33, s34, v15
	v_mad_u64_u32 v[15:16], s[6:7], s34, v29, 0
	v_xor_b32_e32 v2, s30, v2
	v_add3_u32 v16, v16, v33, v30
	v_sub_u32_e32 v30, v32, v16
	v_mov_b32_e32 v33, s35
	v_sub_co_u32_e32 v15, vcc, v31, v15
	v_subb_co_u32_e64 v30, s[6:7], v30, v33, vcc
	v_subrev_co_u32_e64 v31, s[6:7], s34, v15
	v_subbrev_co_u32_e64 v30, s[6:7], 0, v30, s[6:7]
	v_cmp_le_u32_e64 s[6:7], s35, v30
	v_subb_co_u32_e32 v16, vcc, v32, v16, vcc
	v_cndmask_b32_e64 v33, 0, -1, s[6:7]
	v_cmp_le_u32_e64 s[6:7], s34, v31
	v_cmp_le_u32_e32 vcc, s35, v16
	v_cndmask_b32_e64 v31, 0, -1, s[6:7]
	v_cmp_eq_u32_e64 s[6:7], s35, v30
	v_cndmask_b32_e64 v32, 0, -1, vcc
	v_cmp_le_u32_e32 vcc, s34, v15
	v_cndmask_b32_e64 v30, v33, v31, s[6:7]
	v_cndmask_b32_e64 v15, 0, -1, vcc
	v_cmp_eq_u32_e32 vcc, s35, v16
	v_add_co_u32_e64 v31, s[6:7], 2, v29
	v_add_co_u32_e64 v33, s[6:7], 1, v29
	v_cndmask_b32_e32 v15, v32, v15, vcc
	v_cmp_ne_u32_e32 vcc, 0, v30
	v_cndmask_b32_e32 v16, v33, v31, vcc
	v_cmp_ne_u32_e32 vcc, 0, v15
	v_cndmask_b32_e32 v15, v29, v16, vcc
	v_xor_b32_e32 v15, v15, v2
	v_sub_co_u32_e32 v15, vcc, v15, v2
.LBB13_26:                              ;   in Loop: Header=BB13_24 Depth=4
	s_andn2_saveexec_b64 s[6:7], s[28:29]
	s_cbranch_execz .LBB13_23
; %bb.27:                               ;   in Loop: Header=BB13_24 Depth=4
	v_cvt_f32_u32_e32 v2, s48
	s_sub_i32 s15, 0, s48
	v_rcp_iflag_f32_e32 v2, v2
	v_mul_f32_e32 v2, 0x4f7ffffe, v2
	v_cvt_u32_f32_e32 v2, v2
	v_mul_lo_u32 v15, s15, v2
	v_mul_hi_u32 v15, v2, v15
	v_add_u32_e32 v2, v2, v15
	v_mul_hi_u32 v2, v12, v2
	v_mul_lo_u32 v15, v2, s48
	v_add_u32_e32 v16, 1, v2
	v_sub_u32_e32 v15, v12, v15
	v_subrev_u32_e32 v29, s48, v15
	v_cmp_le_u32_e32 vcc, s48, v15
	v_cndmask_b32_e32 v15, v15, v29, vcc
	v_cndmask_b32_e32 v2, v2, v16, vcc
	v_add_u32_e32 v16, 1, v2
	v_cmp_le_u32_e32 vcc, s48, v15
	v_cndmask_b32_e32 v15, v2, v16, vcc
	s_branch .LBB13_23
.LBB13_28:
	s_endpgm
	.section	.rodata,"a",@progbits
	.p2align	6, 0x0
	.amdhsa_kernel _ZN2at6native12_GLOBAL__N_126adaptive_average_gradinputIdEEvPT_PKS3_iiii
		.amdhsa_group_segment_fixed_size 0
		.amdhsa_private_segment_fixed_size 0
		.amdhsa_kernarg_size 288
		.amdhsa_user_sgpr_count 6
		.amdhsa_user_sgpr_private_segment_buffer 1
		.amdhsa_user_sgpr_dispatch_ptr 0
		.amdhsa_user_sgpr_queue_ptr 0
		.amdhsa_user_sgpr_kernarg_segment_ptr 1
		.amdhsa_user_sgpr_dispatch_id 0
		.amdhsa_user_sgpr_flat_scratch_init 0
		.amdhsa_user_sgpr_private_segment_size 0
		.amdhsa_uses_dynamic_stack 0
		.amdhsa_system_sgpr_private_segment_wavefront_offset 0
		.amdhsa_system_sgpr_workgroup_id_x 1
		.amdhsa_system_sgpr_workgroup_id_y 1
		.amdhsa_system_sgpr_workgroup_id_z 0
		.amdhsa_system_sgpr_workgroup_info 0
		.amdhsa_system_vgpr_workitem_id 1
		.amdhsa_next_free_vgpr 39
		.amdhsa_next_free_sgpr 60
		.amdhsa_reserve_vcc 1
		.amdhsa_reserve_flat_scratch 0
		.amdhsa_float_round_mode_32 0
		.amdhsa_float_round_mode_16_64 0
		.amdhsa_float_denorm_mode_32 3
		.amdhsa_float_denorm_mode_16_64 3
		.amdhsa_dx10_clamp 1
		.amdhsa_ieee_mode 1
		.amdhsa_fp16_overflow 0
		.amdhsa_exception_fp_ieee_invalid_op 0
		.amdhsa_exception_fp_denorm_src 0
		.amdhsa_exception_fp_ieee_div_zero 0
		.amdhsa_exception_fp_ieee_overflow 0
		.amdhsa_exception_fp_ieee_underflow 0
		.amdhsa_exception_fp_ieee_inexact 0
		.amdhsa_exception_int_div_zero 0
	.end_amdhsa_kernel
	.section	.text._ZN2at6native12_GLOBAL__N_126adaptive_average_gradinputIdEEvPT_PKS3_iiii,"axG",@progbits,_ZN2at6native12_GLOBAL__N_126adaptive_average_gradinputIdEEvPT_PKS3_iiii,comdat
.Lfunc_end13:
	.size	_ZN2at6native12_GLOBAL__N_126adaptive_average_gradinputIdEEvPT_PKS3_iiii, .Lfunc_end13-_ZN2at6native12_GLOBAL__N_126adaptive_average_gradinputIdEEvPT_PKS3_iiii
                                        ; -- End function
	.set _ZN2at6native12_GLOBAL__N_126adaptive_average_gradinputIdEEvPT_PKS3_iiii.num_vgpr, 39
	.set _ZN2at6native12_GLOBAL__N_126adaptive_average_gradinputIdEEvPT_PKS3_iiii.num_agpr, 0
	.set _ZN2at6native12_GLOBAL__N_126adaptive_average_gradinputIdEEvPT_PKS3_iiii.numbered_sgpr, 60
	.set _ZN2at6native12_GLOBAL__N_126adaptive_average_gradinputIdEEvPT_PKS3_iiii.num_named_barrier, 0
	.set _ZN2at6native12_GLOBAL__N_126adaptive_average_gradinputIdEEvPT_PKS3_iiii.private_seg_size, 0
	.set _ZN2at6native12_GLOBAL__N_126adaptive_average_gradinputIdEEvPT_PKS3_iiii.uses_vcc, 1
	.set _ZN2at6native12_GLOBAL__N_126adaptive_average_gradinputIdEEvPT_PKS3_iiii.uses_flat_scratch, 0
	.set _ZN2at6native12_GLOBAL__N_126adaptive_average_gradinputIdEEvPT_PKS3_iiii.has_dyn_sized_stack, 0
	.set _ZN2at6native12_GLOBAL__N_126adaptive_average_gradinputIdEEvPT_PKS3_iiii.has_recursion, 0
	.set _ZN2at6native12_GLOBAL__N_126adaptive_average_gradinputIdEEvPT_PKS3_iiii.has_indirect_call, 0
	.section	.AMDGPU.csdata,"",@progbits
; Kernel info:
; codeLenInByte = 4488
; TotalNumSgprs: 64
; NumVgprs: 39
; ScratchSize: 0
; MemoryBound: 0
; FloatMode: 240
; IeeeMode: 1
; LDSByteSize: 0 bytes/workgroup (compile time only)
; SGPRBlocks: 7
; VGPRBlocks: 9
; NumSGPRsForWavesPerEU: 64
; NumVGPRsForWavesPerEU: 39
; Occupancy: 6
; WaveLimiterHint : 0
; COMPUTE_PGM_RSRC2:SCRATCH_EN: 0
; COMPUTE_PGM_RSRC2:USER_SGPR: 6
; COMPUTE_PGM_RSRC2:TRAP_HANDLER: 0
; COMPUTE_PGM_RSRC2:TGID_X_EN: 1
; COMPUTE_PGM_RSRC2:TGID_Y_EN: 1
; COMPUTE_PGM_RSRC2:TGID_Z_EN: 0
; COMPUTE_PGM_RSRC2:TIDIG_COMP_CNT: 1
	.section	.text._ZN2at6native12_GLOBAL__N_133atomic_adaptive_average_gradinputIfEEvPT_PKS3_iiii,"axG",@progbits,_ZN2at6native12_GLOBAL__N_133atomic_adaptive_average_gradinputIfEEvPT_PKS3_iiii,comdat
	.globl	_ZN2at6native12_GLOBAL__N_133atomic_adaptive_average_gradinputIfEEvPT_PKS3_iiii ; -- Begin function _ZN2at6native12_GLOBAL__N_133atomic_adaptive_average_gradinputIfEEvPT_PKS3_iiii
	.p2align	8
	.type	_ZN2at6native12_GLOBAL__N_133atomic_adaptive_average_gradinputIfEEvPT_PKS3_iiii,@function
_ZN2at6native12_GLOBAL__N_133atomic_adaptive_average_gradinputIfEEvPT_PKS3_iiii: ; @_ZN2at6native12_GLOBAL__N_133atomic_adaptive_average_gradinputIfEEvPT_PKS3_iiii
; %bb.0:
	s_load_dword s2, s[4:5], 0x2c
	s_load_dwordx4 s[8:11], s[4:5], 0x10
	s_add_u32 s0, s4, 32
	s_addc_u32 s1, s5, 0
	s_waitcnt lgkmcnt(0)
	s_lshr_b32 s3, s2, 16
	s_mul_i32 s7, s7, s3
	v_add_u32_e32 v7, s7, v1
	v_cmp_gt_i32_e32 vcc, s10, v7
	s_and_saveexec_b64 s[12:13], vcc
	s_cbranch_execz .LBB14_22
; %bb.1:
	s_load_dwordx4 s[12:15], s[4:5], 0x0
	s_mul_i32 s4, s10, s6
	s_mul_i32 s4, s4, s11
	s_ashr_i32 s5, s4, 31
	s_lshl_b64 s[4:5], s[4:5], 2
	s_waitcnt lgkmcnt(0)
	s_add_u32 s33, s14, s4
	s_mul_i32 s4, s8, s6
	s_mul_i32 s4, s4, s9
	s_addc_u32 s34, s15, s5
	s_ashr_i32 s5, s4, 31
	s_load_dword s37, s[0:1], 0x4
	s_lshl_b64 s[0:1], s[4:5], 2
	s_add_u32 s35, s12, s0
	s_addc_u32 s36, s13, s1
	s_abs_i32 s41, s10
	v_cvt_f32_u32_e32 v1, s41
	s_abs_i32 s42, s11
	v_cvt_f32_u32_e32 v2, s42
	s_and_b32 s38, s2, 0xffff
	v_rcp_iflag_f32_e32 v1, v1
	s_sub_i32 s2, 0, s41
	v_rcp_iflag_f32_e32 v2, v2
	s_ashr_i32 s39, s10, 31
	v_mul_f32_e32 v1, 0x4f7ffffe, v1
	v_cvt_u32_f32_e32 v1, v1
	v_mul_f32_e32 v2, 0x4f7ffffe, v2
	v_cvt_u32_f32_e32 v3, v2
	s_waitcnt lgkmcnt(0)
	s_mul_i32 s37, s37, s3
	v_mul_lo_u32 v2, s2, v1
	s_sub_i32 s2, 0, s42
	v_mul_lo_u32 v4, s2, v3
	s_mov_b32 s40, s10
	v_mul_hi_u32 v2, v1, v2
	v_cmp_gt_i32_e64 s[0:1], s11, v0
	v_mul_hi_u32 v4, v3, v4
	s_ashr_i32 s7, s9, 31
	s_mov_b32 s6, s9
	s_ashr_i32 s43, s11, 31
	s_mov_b32 s44, s11
	s_mov_b32 s13, 0
	v_add_u32_e32 v8, v1, v2
	v_mov_b32_e32 v2, 0
	v_add_u32_e32 v9, v3, v4
	s_mov_b64 s[14:15], 0
	s_brev_b32 s45, -2
	s_ashr_i32 s16, s39, 31
	s_branch .LBB14_3
.LBB14_2:                               ;   in Loop: Header=BB14_3 Depth=1
	s_or_b64 exec, exec, s[18:19]
	v_add_u32_e32 v7, s37, v7
	v_cmp_le_i32_e32 vcc, s10, v7
	s_or_b64 s[14:15], vcc, s[14:15]
	s_andn2_b64 exec, exec, s[14:15]
	s_cbranch_execz .LBB14_22
.LBB14_3:                               ; =>This Loop Header: Depth=1
                                        ;     Child Loop BB14_10 Depth 2
                                        ;       Child Loop BB14_17 Depth 3
                                        ;         Child Loop BB14_19 Depth 4
                                        ;           Child Loop BB14_20 Depth 5
	v_add_u32_e32 v1, 1, v7
	v_mad_i64_i32 v[3:4], s[2:3], v1, s8, -1
	v_mov_b32_e32 v5, v2
	v_or_b32_e32 v6, s39, v4
	v_cmp_ne_u64_e32 vcc, 0, v[5:6]
                                        ; implicit-def: $vgpr5_vgpr6
	s_and_saveexec_b64 s[2:3], vcc
	s_xor_b64 s[4:5], exec, s[2:3]
	s_cbranch_execnz .LBB14_6
; %bb.4:                                ;   in Loop: Header=BB14_3 Depth=1
	s_andn2_saveexec_b64 s[2:3], s[4:5]
	s_cbranch_execnz .LBB14_7
.LBB14_5:                               ;   in Loop: Header=BB14_3 Depth=1
	s_or_b64 exec, exec, s[2:3]
	s_and_saveexec_b64 s[18:19], s[0:1]
	s_cbranch_execz .LBB14_2
	s_branch .LBB14_8
.LBB14_6:                               ;   in Loop: Header=BB14_3 Depth=1
	s_add_u32 s2, s40, s16
	s_mov_b32 s17, s16
	s_addc_u32 s3, s39, s16
	s_xor_b64 s[18:19], s[2:3], s[16:17]
	v_cvt_f32_u32_e32 v1, s18
	v_cvt_f32_u32_e32 v5, s19
	s_sub_u32 s12, 0, s18
	s_subb_u32 s17, 0, s19
	v_mac_f32_e32 v1, 0x4f800000, v5
	v_rcp_f32_e32 v1, v1
	v_mul_f32_e32 v1, 0x5f7ffffc, v1
	v_mul_f32_e32 v5, 0x2f800000, v1
	v_trunc_f32_e32 v5, v5
	v_mac_f32_e32 v1, 0xcf800000, v5
	v_cvt_u32_f32_e32 v5, v5
	v_cvt_u32_f32_e32 v1, v1
	v_readfirstlane_b32 s20, v5
	v_readfirstlane_b32 s2, v1
	s_mul_i32 s3, s12, s20
	s_mul_hi_u32 s22, s12, s2
	s_mul_i32 s21, s17, s2
	s_add_i32 s3, s22, s3
	s_add_i32 s3, s3, s21
	s_mul_i32 s23, s12, s2
	s_mul_i32 s22, s2, s3
	s_mul_hi_u32 s24, s2, s23
	s_mul_hi_u32 s21, s2, s3
	s_add_u32 s22, s24, s22
	s_addc_u32 s21, 0, s21
	s_mul_hi_u32 s25, s20, s23
	s_mul_i32 s23, s20, s23
	s_add_u32 s22, s22, s23
	s_mul_hi_u32 s24, s20, s3
	s_addc_u32 s21, s21, s25
	s_addc_u32 s22, s24, 0
	s_mul_i32 s3, s20, s3
	s_add_u32 s3, s21, s3
	s_addc_u32 s21, 0, s22
	s_add_u32 s22, s2, s3
	s_cselect_b64 s[2:3], -1, 0
	s_cmp_lg_u64 s[2:3], 0
	s_addc_u32 s20, s20, s21
	s_mul_i32 s2, s12, s20
	s_mul_hi_u32 s3, s12, s22
	s_add_i32 s2, s3, s2
	s_mul_i32 s17, s17, s22
	s_add_i32 s2, s2, s17
	s_mul_i32 s12, s12, s22
	s_mul_hi_u32 s17, s20, s12
	s_mul_i32 s21, s20, s12
	s_mul_i32 s24, s22, s2
	s_mul_hi_u32 s12, s22, s12
	s_mul_hi_u32 s23, s22, s2
	s_add_u32 s12, s12, s24
	s_addc_u32 s23, 0, s23
	s_add_u32 s12, s12, s21
	s_mul_hi_u32 s3, s20, s2
	s_addc_u32 s12, s23, s17
	s_addc_u32 s3, s3, 0
	s_mul_i32 s2, s20, s2
	s_add_u32 s2, s12, s2
	s_addc_u32 s12, 0, s3
	s_add_u32 s17, s22, s2
	s_cselect_b64 s[2:3], -1, 0
	v_ashrrev_i32_e32 v1, 31, v4
	s_cmp_lg_u64 s[2:3], 0
	v_add_co_u32_e32 v3, vcc, v3, v1
	s_addc_u32 s12, s20, s12
	v_xor_b32_e32 v10, v3, v1
	v_addc_co_u32_e32 v5, vcc, v4, v1, vcc
	v_mad_u64_u32 v[3:4], s[2:3], v10, s12, 0
	v_mul_hi_u32 v6, v10, s17
	v_xor_b32_e32 v11, v5, v1
	v_xor_b32_e32 v1, s16, v1
	v_add_co_u32_e32 v12, vcc, v6, v3
	v_addc_co_u32_e32 v13, vcc, 0, v4, vcc
	v_mad_u64_u32 v[3:4], s[2:3], v11, s17, 0
	v_mad_u64_u32 v[5:6], s[2:3], v11, s12, 0
	v_add_co_u32_e32 v3, vcc, v12, v3
	v_addc_co_u32_e32 v3, vcc, v13, v4, vcc
	v_addc_co_u32_e32 v4, vcc, 0, v6, vcc
	v_add_co_u32_e32 v5, vcc, v3, v5
	v_addc_co_u32_e32 v3, vcc, 0, v4, vcc
	v_mul_lo_u32 v6, s19, v5
	v_mul_lo_u32 v12, s18, v3
	v_mad_u64_u32 v[3:4], s[2:3], s18, v5, 0
	v_add3_u32 v4, v4, v12, v6
	v_sub_u32_e32 v6, v11, v4
	v_mov_b32_e32 v12, s19
	v_sub_co_u32_e32 v3, vcc, v10, v3
	v_subb_co_u32_e64 v6, s[2:3], v6, v12, vcc
	v_subrev_co_u32_e64 v10, s[2:3], s18, v3
	v_subbrev_co_u32_e64 v6, s[2:3], 0, v6, s[2:3]
	v_cmp_le_u32_e64 s[2:3], s19, v6
	v_subb_co_u32_e32 v4, vcc, v11, v4, vcc
	v_cndmask_b32_e64 v12, 0, -1, s[2:3]
	v_cmp_le_u32_e64 s[2:3], s18, v10
	v_cmp_le_u32_e32 vcc, s19, v4
	v_cndmask_b32_e64 v10, 0, -1, s[2:3]
	v_cmp_eq_u32_e64 s[2:3], s19, v6
	v_cndmask_b32_e64 v11, 0, -1, vcc
	v_cmp_le_u32_e32 vcc, s18, v3
	v_cndmask_b32_e64 v6, v12, v10, s[2:3]
	v_cndmask_b32_e64 v3, 0, -1, vcc
	v_cmp_eq_u32_e32 vcc, s19, v4
	v_add_co_u32_e64 v10, s[2:3], 2, v5
	v_add_co_u32_e64 v12, s[2:3], 1, v5
	v_cndmask_b32_e32 v3, v11, v3, vcc
	v_cmp_ne_u32_e32 vcc, 0, v6
	v_cndmask_b32_e32 v4, v12, v10, vcc
	v_cmp_ne_u32_e32 vcc, 0, v3
	v_cndmask_b32_e32 v3, v5, v4, vcc
	v_xor_b32_e32 v3, v3, v1
	v_sub_co_u32_e32 v5, vcc, v3, v1
                                        ; implicit-def: $vgpr3_vgpr4
	s_andn2_saveexec_b64 s[2:3], s[4:5]
	s_cbranch_execz .LBB14_5
.LBB14_7:                               ;   in Loop: Header=BB14_3 Depth=1
	v_cvt_f32_u32_e32 v1, s40
	s_sub_i32 s4, 0, s40
	v_rcp_iflag_f32_e32 v1, v1
	v_mul_f32_e32 v1, 0x4f7ffffe, v1
	v_cvt_u32_f32_e32 v1, v1
	v_mul_lo_u32 v4, s4, v1
	v_mul_hi_u32 v4, v1, v4
	v_add_u32_e32 v1, v1, v4
	v_mul_hi_u32 v1, v3, v1
	v_mul_lo_u32 v4, v1, s40
	v_add_u32_e32 v5, 1, v1
	v_sub_u32_e32 v3, v3, v4
	v_subrev_u32_e32 v4, s40, v3
	v_cmp_le_u32_e32 vcc, s40, v3
	v_cndmask_b32_e32 v3, v3, v4, vcc
	v_cndmask_b32_e32 v1, v1, v5, vcc
	v_add_u32_e32 v4, 1, v1
	v_cmp_le_u32_e32 vcc, s40, v3
	v_cndmask_b32_e32 v5, v1, v4, vcc
	s_or_b64 exec, exec, s[2:3]
	s_and_saveexec_b64 s[18:19], s[0:1]
	s_cbranch_execz .LBB14_2
.LBB14_8:                               ;   in Loop: Header=BB14_3 Depth=1
	v_sub_u32_e32 v1, 0, v7
	v_max_i32_e32 v1, v7, v1
	v_mul_hi_u32 v3, v1, v8
	v_ashrrev_i32_e32 v6, 31, v7
	v_xor_b32_e32 v6, s39, v6
	v_mov_b32_e32 v14, s34
	v_mul_lo_u32 v4, v3, s41
	v_add_u32_e32 v10, 1, v3
	s_mov_b64 s[20:21], 0
	v_sub_u32_e32 v1, v1, v4
	v_cmp_le_u32_e32 vcc, s41, v1
	v_subrev_u32_e32 v4, s41, v1
	v_cndmask_b32_e32 v3, v3, v10, vcc
	v_cndmask_b32_e32 v1, v1, v4, vcc
	v_add_u32_e32 v4, 1, v3
	v_cmp_le_u32_e32 vcc, s41, v1
	v_cndmask_b32_e32 v1, v3, v4, vcc
	v_xor_b32_e32 v1, v1, v6
	v_sub_u32_e32 v4, v1, v6
	v_mul_lo_u32 v1, v4, s10
	v_sub_u32_e32 v1, v7, v1
	v_mul_lo_u32 v1, v1, s8
	v_sub_u32_e32 v3, 0, v1
	v_max_i32_e32 v6, v1, v3
	v_mul_hi_u32 v10, v6, v8
	v_ashrrev_i32_e32 v1, 31, v1
	v_xor_b32_e32 v1, s39, v1
	v_mul_lo_u32 v3, v7, s11
	v_mul_lo_u32 v11, v10, s41
	v_add_u32_e32 v12, 1, v10
	v_sub_u32_e32 v6, v6, v11
	v_cmp_le_u32_e32 vcc, s41, v6
	v_subrev_u32_e32 v11, s41, v6
	v_cndmask_b32_e32 v10, v10, v12, vcc
	v_cndmask_b32_e32 v6, v6, v11, vcc
	v_add_u32_e32 v11, 1, v10
	v_cmp_le_u32_e32 vcc, s41, v6
	v_cndmask_b32_e32 v6, v10, v11, vcc
	v_xor_b32_e32 v6, v6, v1
	v_sub_u32_e32 v1, v6, v1
	v_mad_u64_u32 v[10:11], s[2:3], v4, s8, v[1:2]
	v_ashrrev_i32_e32 v4, 31, v3
	v_mov_b32_e32 v1, s36
	v_mul_lo_u32 v11, v10, s9
	v_sub_u32_e32 v10, v5, v10
	v_add_u32_e32 v15, 1, v10
	v_lshlrev_b64 v[3:4], 2, v[3:4]
	v_ashrrev_i32_e32 v12, 31, v11
	v_lshlrev_b64 v[5:6], 2, v[11:12]
	v_cvt_f32_i32_e32 v15, v15
	v_add_co_u32_e32 v11, vcc, s35, v5
	v_addc_co_u32_e32 v12, vcc, v1, v6, vcc
	v_add_co_u32_e32 v13, vcc, s33, v3
	v_addc_co_u32_e32 v14, vcc, v14, v4, vcc
	v_cmp_gt_u32_e64 s[2:3], s45, v10
	v_mov_b32_e32 v1, v0
	s_branch .LBB14_10
.LBB14_9:                               ;   in Loop: Header=BB14_10 Depth=2
	s_or_b64 exec, exec, s[22:23]
	v_add_u32_e32 v1, s38, v1
	v_cmp_le_i32_e32 vcc, s11, v1
	s_or_b64 s[20:21], vcc, s[20:21]
	s_andn2_b64 exec, exec, s[20:21]
	s_cbranch_execz .LBB14_2
.LBB14_10:                              ;   Parent Loop BB14_3 Depth=1
                                        ; =>  This Loop Header: Depth=2
                                        ;       Child Loop BB14_17 Depth 3
                                        ;         Child Loop BB14_19 Depth 4
                                        ;           Child Loop BB14_20 Depth 5
	v_add_u32_e32 v5, 1, v1
	v_mad_u64_u32 v[3:4], s[4:5], v5, s6, -1
	v_mad_u64_u32 v[4:5], s[4:5], v5, s7, v[4:5]
	v_mov_b32_e32 v5, v2
	v_or_b32_e32 v6, s43, v4
	v_cmp_ne_u64_e32 vcc, 0, v[5:6]
                                        ; implicit-def: $vgpr5_vgpr6
	s_and_saveexec_b64 s[4:5], vcc
	s_xor_b64 s[22:23], exec, s[4:5]
	s_cbranch_execnz .LBB14_13
; %bb.11:                               ;   in Loop: Header=BB14_10 Depth=2
	s_andn2_saveexec_b64 s[4:5], s[22:23]
	s_cbranch_execnz .LBB14_14
.LBB14_12:                              ;   in Loop: Header=BB14_10 Depth=2
	s_or_b64 exec, exec, s[4:5]
	s_and_saveexec_b64 s[22:23], s[2:3]
	s_cbranch_execz .LBB14_9
	s_branch .LBB14_15
.LBB14_13:                              ;   in Loop: Header=BB14_10 Depth=2
	s_ashr_i32 s24, s43, 31
	s_add_u32 s4, s44, s24
	s_mov_b32 s25, s24
	s_addc_u32 s5, s43, s24
	s_xor_b64 s[26:27], s[4:5], s[24:25]
	v_cvt_f32_u32_e32 v5, s26
	v_cvt_f32_u32_e32 v6, s27
	s_sub_u32 s12, 0, s26
	s_subb_u32 s17, 0, s27
	v_ashrrev_i32_e32 v16, 31, v4
	v_mac_f32_e32 v5, 0x4f800000, v6
	v_rcp_f32_e32 v5, v5
	v_add_co_u32_e32 v3, vcc, v3, v16
	v_xor_b32_e32 v17, v3, v16
	v_mul_f32_e32 v5, 0x5f7ffffc, v5
	v_mul_f32_e32 v6, 0x2f800000, v5
	v_trunc_f32_e32 v6, v6
	v_mac_f32_e32 v5, 0xcf800000, v6
	v_cvt_u32_f32_e32 v6, v6
	v_cvt_u32_f32_e32 v5, v5
	v_readfirstlane_b32 s25, v6
	v_readfirstlane_b32 s4, v5
	s_mul_i32 s5, s12, s25
	s_mul_hi_u32 s29, s12, s4
	s_mul_i32 s28, s17, s4
	s_add_i32 s5, s29, s5
	s_add_i32 s5, s5, s28
	s_mul_i32 s30, s12, s4
	s_mul_i32 s29, s4, s5
	s_mul_hi_u32 s31, s4, s30
	s_mul_hi_u32 s28, s4, s5
	s_add_u32 s29, s31, s29
	s_addc_u32 s28, 0, s28
	s_mul_hi_u32 s46, s25, s30
	s_mul_i32 s30, s25, s30
	s_add_u32 s29, s29, s30
	s_mul_hi_u32 s31, s25, s5
	s_addc_u32 s28, s28, s46
	s_addc_u32 s29, s31, 0
	s_mul_i32 s5, s25, s5
	s_add_u32 s5, s28, s5
	s_addc_u32 s28, 0, s29
	s_add_u32 s29, s4, s5
	s_cselect_b64 s[4:5], -1, 0
	s_cmp_lg_u64 s[4:5], 0
	s_addc_u32 s25, s25, s28
	s_mul_i32 s4, s12, s25
	s_mul_hi_u32 s5, s12, s29
	s_add_i32 s4, s5, s4
	s_mul_i32 s17, s17, s29
	s_add_i32 s4, s4, s17
	s_mul_i32 s12, s12, s29
	s_mul_hi_u32 s17, s25, s12
	s_mul_i32 s28, s25, s12
	s_mul_i32 s31, s29, s4
	s_mul_hi_u32 s12, s29, s12
	s_mul_hi_u32 s30, s29, s4
	s_add_u32 s12, s12, s31
	s_addc_u32 s30, 0, s30
	s_add_u32 s12, s12, s28
	s_mul_hi_u32 s5, s25, s4
	s_addc_u32 s12, s30, s17
	s_addc_u32 s5, s5, 0
	s_mul_i32 s4, s25, s4
	s_add_u32 s4, s12, s4
	s_addc_u32 s12, 0, s5
	s_add_u32 s17, s29, s4
	s_cselect_b64 s[4:5], -1, 0
	s_cmp_lg_u64 s[4:5], 0
	s_addc_u32 s12, s25, s12
	v_addc_co_u32_e32 v5, vcc, v4, v16, vcc
	v_mad_u64_u32 v[3:4], s[4:5], v17, s12, 0
	v_mul_hi_u32 v6, v17, s17
	v_xor_b32_e32 v18, v5, v16
	v_add_co_u32_e32 v19, vcc, v6, v3
	v_addc_co_u32_e32 v20, vcc, 0, v4, vcc
	v_mad_u64_u32 v[3:4], s[4:5], v18, s17, 0
	v_mad_u64_u32 v[5:6], s[4:5], v18, s12, 0
	v_add_co_u32_e32 v3, vcc, v19, v3
	v_addc_co_u32_e32 v3, vcc, v20, v4, vcc
	v_addc_co_u32_e32 v4, vcc, 0, v6, vcc
	v_add_co_u32_e32 v5, vcc, v3, v5
	v_addc_co_u32_e32 v3, vcc, 0, v4, vcc
	v_mul_lo_u32 v6, s27, v5
	v_mul_lo_u32 v19, s26, v3
	v_mad_u64_u32 v[3:4], s[4:5], s26, v5, 0
	v_add3_u32 v4, v4, v19, v6
	v_sub_u32_e32 v6, v18, v4
	v_mov_b32_e32 v19, s27
	v_sub_co_u32_e32 v3, vcc, v17, v3
	v_subb_co_u32_e64 v6, s[4:5], v6, v19, vcc
	v_subrev_co_u32_e64 v17, s[4:5], s26, v3
	v_subbrev_co_u32_e64 v6, s[4:5], 0, v6, s[4:5]
	v_cmp_le_u32_e64 s[4:5], s27, v6
	v_subb_co_u32_e32 v4, vcc, v18, v4, vcc
	v_cndmask_b32_e64 v19, 0, -1, s[4:5]
	v_cmp_le_u32_e64 s[4:5], s26, v17
	v_cmp_le_u32_e32 vcc, s27, v4
	v_cndmask_b32_e64 v17, 0, -1, s[4:5]
	v_cmp_eq_u32_e64 s[4:5], s27, v6
	v_cndmask_b32_e64 v18, 0, -1, vcc
	v_cmp_le_u32_e32 vcc, s26, v3
	v_cndmask_b32_e64 v6, v19, v17, s[4:5]
	v_cndmask_b32_e64 v3, 0, -1, vcc
	v_cmp_eq_u32_e32 vcc, s27, v4
	v_add_co_u32_e64 v17, s[4:5], 2, v5
	v_add_co_u32_e64 v19, s[4:5], 1, v5
	v_cndmask_b32_e32 v3, v18, v3, vcc
	v_cmp_ne_u32_e32 vcc, 0, v6
	v_cndmask_b32_e32 v4, v19, v17, vcc
	v_cmp_ne_u32_e32 vcc, 0, v3
	v_cndmask_b32_e32 v3, v5, v4, vcc
	v_xor_b32_e32 v4, s24, v16
	v_xor_b32_e32 v3, v3, v4
	v_sub_co_u32_e32 v5, vcc, v3, v4
                                        ; implicit-def: $vgpr3_vgpr4
	s_andn2_saveexec_b64 s[4:5], s[22:23]
	s_cbranch_execz .LBB14_12
.LBB14_14:                              ;   in Loop: Header=BB14_10 Depth=2
	v_cvt_f32_u32_e32 v4, s44
	s_sub_i32 s12, 0, s44
	v_rcp_iflag_f32_e32 v4, v4
	v_mul_f32_e32 v4, 0x4f7ffffe, v4
	v_cvt_u32_f32_e32 v4, v4
	v_mul_lo_u32 v5, s12, v4
	v_mul_hi_u32 v5, v4, v5
	v_add_u32_e32 v4, v4, v5
	v_mul_hi_u32 v4, v3, v4
	v_mul_lo_u32 v5, v4, s44
	v_add_u32_e32 v6, 1, v4
	v_sub_u32_e32 v3, v3, v5
	v_subrev_u32_e32 v5, s44, v3
	v_cmp_le_u32_e32 vcc, s44, v3
	v_cndmask_b32_e32 v3, v3, v5, vcc
	v_cndmask_b32_e32 v4, v4, v6, vcc
	v_add_u32_e32 v5, 1, v4
	v_cmp_le_u32_e32 vcc, s44, v3
	v_cndmask_b32_e32 v5, v4, v5, vcc
	s_or_b64 exec, exec, s[4:5]
	s_and_saveexec_b64 s[22:23], s[2:3]
	s_cbranch_execz .LBB14_9
.LBB14_15:                              ;   in Loop: Header=BB14_10 Depth=2
	v_lshlrev_b64 v[3:4], 2, v[1:2]
	s_mov_b32 s17, 0
	v_add_co_u32_e32 v3, vcc, v13, v3
	v_addc_co_u32_e32 v4, vcc, v14, v4, vcc
	global_load_dword v6, v[3:4], off
	v_mul_hi_u32 v3, v1, v9
	v_mul_lo_u32 v4, v1, s9
	s_mov_b64 s[24:25], 0
	v_mul_lo_u32 v16, v3, s42
	v_sub_u32_e32 v19, 0, v4
	v_ashrrev_i32_e32 v18, 31, v4
	v_max_i32_e32 v4, v4, v19
	v_mul_hi_u32 v19, v4, v9
	v_sub_u32_e32 v16, v1, v16
	v_add_u32_e32 v17, 1, v3
	v_cmp_le_u32_e32 vcc, s42, v16
	v_cndmask_b32_e32 v3, v3, v17, vcc
	v_subrev_u32_e32 v17, s42, v16
	v_cndmask_b32_e32 v16, v16, v17, vcc
	v_mul_lo_u32 v20, v19, s42
	v_add_u32_e32 v17, 1, v3
	v_cmp_le_u32_e32 vcc, s42, v16
	v_cndmask_b32_e32 v3, v3, v17, vcc
	v_xor_b32_e32 v3, s43, v3
	v_subrev_u32_e32 v16, s43, v3
	v_sub_u32_e32 v3, v4, v20
	v_add_u32_e32 v21, 1, v19
	v_cmp_le_u32_e32 vcc, s42, v3
	v_subrev_u32_e32 v17, s42, v3
	v_cndmask_b32_e32 v4, v19, v21, vcc
	v_cndmask_b32_e32 v3, v3, v17, vcc
	v_add_u32_e32 v17, 1, v4
	v_cmp_le_u32_e32 vcc, s42, v3
	v_xor_b32_e32 v18, s43, v18
	v_cndmask_b32_e32 v3, v4, v17, vcc
	v_xor_b32_e32 v3, v3, v18
	v_sub_u32_e32 v3, v3, v18
	v_mad_u64_u32 v[3:4], s[4:5], v16, s9, v[3:4]
	v_sub_u32_e32 v16, v5, v3
	v_add_u32_e32 v4, 1, v16
	v_cvt_f32_i32_e32 v4, v4
	s_waitcnt vmcnt(0)
	v_div_scale_f32 v5, s[4:5], v4, v4, v6
	v_div_scale_f32 v17, vcc, v6, v4, v6
	v_rcp_f32_e32 v18, v5
	v_fma_f32 v19, -v5, v18, 1.0
	v_fmac_f32_e32 v18, v19, v18
	v_mul_f32_e32 v19, v17, v18
	v_fma_f32 v20, -v5, v19, v17
	v_fmac_f32_e32 v19, v20, v18
	v_fma_f32 v5, -v5, v19, v17
	v_div_fmas_f32 v5, v5, v18, v19
	v_div_fixup_f32 v5, v5, v4, v6
	v_div_scale_f32 v4, s[4:5], v15, v15, v5
	v_div_scale_f32 v6, vcc, v5, v15, v5
	v_rcp_f32_e32 v17, v4
	v_fma_f32 v18, -v4, v17, 1.0
	v_fmac_f32_e32 v17, v18, v17
	v_mul_f32_e32 v18, v6, v17
	v_fma_f32 v19, -v4, v18, v6
	v_fmac_f32_e32 v18, v19, v17
	v_fma_f32 v4, -v4, v18, v6
	v_div_fmas_f32 v6, v4, v17, v18
	v_ashrrev_i32_e32 v4, 31, v3
	v_lshlrev_b64 v[3:4], 2, v[3:4]
	v_cmp_gt_u32_e32 vcc, s45, v16
	v_add_co_u32_e64 v17, s[4:5], v11, v3
	v_addc_co_u32_e64 v18, s[4:5], v12, v4, s[4:5]
	v_div_fixup_f32 v19, v6, v15, v5
	s_branch .LBB14_17
.LBB14_16:                              ;   in Loop: Header=BB14_17 Depth=3
	s_or_b64 exec, exec, s[26:27]
	s_lshl_b64 s[4:5], s[6:7], 2
	v_mov_b32_e32 v3, s5
	v_add_co_u32_e64 v17, s[4:5], s4, v17
	v_addc_co_u32_e64 v18, s[4:5], v18, v3, s[4:5]
	s_add_i32 s12, s17, 1
	v_cmp_eq_u32_e64 s[4:5], s17, v10
	s_or_b64 s[24:25], s[4:5], s[24:25]
	s_mov_b32 s17, s12
	s_andn2_b64 exec, exec, s[24:25]
	s_cbranch_execz .LBB14_9
.LBB14_17:                              ;   Parent Loop BB14_3 Depth=1
                                        ;     Parent Loop BB14_10 Depth=2
                                        ; =>    This Loop Header: Depth=3
                                        ;         Child Loop BB14_19 Depth 4
                                        ;           Child Loop BB14_20 Depth 5
	s_and_saveexec_b64 s[26:27], vcc
	s_cbranch_execz .LBB14_16
; %bb.18:                               ;   in Loop: Header=BB14_17 Depth=3
	s_mov_b32 s12, 0
	s_mov_b64 s[28:29], 0
.LBB14_19:                              ;   Parent Loop BB14_3 Depth=1
                                        ;     Parent Loop BB14_10 Depth=2
                                        ;       Parent Loop BB14_17 Depth=3
                                        ; =>      This Loop Header: Depth=4
                                        ;           Child Loop BB14_20 Depth 5
	s_lshl_b64 s[4:5], s[12:13], 2
	v_mov_b32_e32 v4, s5
	v_add_co_u32_e64 v3, s[4:5], s4, v17
	v_addc_co_u32_e64 v4, s[4:5], v18, v4, s[4:5]
	global_load_dword v6, v[3:4], off
	s_mov_b64 s[30:31], 0
.LBB14_20:                              ;   Parent Loop BB14_3 Depth=1
                                        ;     Parent Loop BB14_10 Depth=2
                                        ;       Parent Loop BB14_17 Depth=3
                                        ;         Parent Loop BB14_19 Depth=4
                                        ; =>        This Inner Loop Header: Depth=5
	s_waitcnt vmcnt(0)
	v_add_f32_e32 v5, v6, v19
	global_atomic_cmpswap v5, v[3:4], v[5:6], off glc
	s_waitcnt vmcnt(0)
	v_cmp_eq_u32_e64 s[4:5], v5, v6
	s_or_b64 s[30:31], s[4:5], s[30:31]
	v_mov_b32_e32 v6, v5
	s_andn2_b64 exec, exec, s[30:31]
	s_cbranch_execnz .LBB14_20
; %bb.21:                               ;   in Loop: Header=BB14_19 Depth=4
	s_or_b64 exec, exec, s[30:31]
	s_add_i32 s30, s12, 1
	v_cmp_eq_u32_e64 s[4:5], s12, v16
	s_or_b64 s[28:29], s[4:5], s[28:29]
	s_mov_b32 s12, s30
	s_andn2_b64 exec, exec, s[28:29]
	s_cbranch_execnz .LBB14_19
	s_branch .LBB14_16
.LBB14_22:
	s_endpgm
	.section	.rodata,"a",@progbits
	.p2align	6, 0x0
	.amdhsa_kernel _ZN2at6native12_GLOBAL__N_133atomic_adaptive_average_gradinputIfEEvPT_PKS3_iiii
		.amdhsa_group_segment_fixed_size 0
		.amdhsa_private_segment_fixed_size 0
		.amdhsa_kernarg_size 288
		.amdhsa_user_sgpr_count 6
		.amdhsa_user_sgpr_private_segment_buffer 1
		.amdhsa_user_sgpr_dispatch_ptr 0
		.amdhsa_user_sgpr_queue_ptr 0
		.amdhsa_user_sgpr_kernarg_segment_ptr 1
		.amdhsa_user_sgpr_dispatch_id 0
		.amdhsa_user_sgpr_flat_scratch_init 0
		.amdhsa_user_sgpr_private_segment_size 0
		.amdhsa_uses_dynamic_stack 0
		.amdhsa_system_sgpr_private_segment_wavefront_offset 0
		.amdhsa_system_sgpr_workgroup_id_x 1
		.amdhsa_system_sgpr_workgroup_id_y 1
		.amdhsa_system_sgpr_workgroup_id_z 0
		.amdhsa_system_sgpr_workgroup_info 0
		.amdhsa_system_vgpr_workitem_id 1
		.amdhsa_next_free_vgpr 22
		.amdhsa_next_free_sgpr 47
		.amdhsa_reserve_vcc 1
		.amdhsa_reserve_flat_scratch 0
		.amdhsa_float_round_mode_32 0
		.amdhsa_float_round_mode_16_64 0
		.amdhsa_float_denorm_mode_32 3
		.amdhsa_float_denorm_mode_16_64 3
		.amdhsa_dx10_clamp 1
		.amdhsa_ieee_mode 1
		.amdhsa_fp16_overflow 0
		.amdhsa_exception_fp_ieee_invalid_op 0
		.amdhsa_exception_fp_denorm_src 0
		.amdhsa_exception_fp_ieee_div_zero 0
		.amdhsa_exception_fp_ieee_overflow 0
		.amdhsa_exception_fp_ieee_underflow 0
		.amdhsa_exception_fp_ieee_inexact 0
		.amdhsa_exception_int_div_zero 0
	.end_amdhsa_kernel
	.section	.text._ZN2at6native12_GLOBAL__N_133atomic_adaptive_average_gradinputIfEEvPT_PKS3_iiii,"axG",@progbits,_ZN2at6native12_GLOBAL__N_133atomic_adaptive_average_gradinputIfEEvPT_PKS3_iiii,comdat
.Lfunc_end14:
	.size	_ZN2at6native12_GLOBAL__N_133atomic_adaptive_average_gradinputIfEEvPT_PKS3_iiii, .Lfunc_end14-_ZN2at6native12_GLOBAL__N_133atomic_adaptive_average_gradinputIfEEvPT_PKS3_iiii
                                        ; -- End function
	.set _ZN2at6native12_GLOBAL__N_133atomic_adaptive_average_gradinputIfEEvPT_PKS3_iiii.num_vgpr, 22
	.set _ZN2at6native12_GLOBAL__N_133atomic_adaptive_average_gradinputIfEEvPT_PKS3_iiii.num_agpr, 0
	.set _ZN2at6native12_GLOBAL__N_133atomic_adaptive_average_gradinputIfEEvPT_PKS3_iiii.numbered_sgpr, 47
	.set _ZN2at6native12_GLOBAL__N_133atomic_adaptive_average_gradinputIfEEvPT_PKS3_iiii.num_named_barrier, 0
	.set _ZN2at6native12_GLOBAL__N_133atomic_adaptive_average_gradinputIfEEvPT_PKS3_iiii.private_seg_size, 0
	.set _ZN2at6native12_GLOBAL__N_133atomic_adaptive_average_gradinputIfEEvPT_PKS3_iiii.uses_vcc, 1
	.set _ZN2at6native12_GLOBAL__N_133atomic_adaptive_average_gradinputIfEEvPT_PKS3_iiii.uses_flat_scratch, 0
	.set _ZN2at6native12_GLOBAL__N_133atomic_adaptive_average_gradinputIfEEvPT_PKS3_iiii.has_dyn_sized_stack, 0
	.set _ZN2at6native12_GLOBAL__N_133atomic_adaptive_average_gradinputIfEEvPT_PKS3_iiii.has_recursion, 0
	.set _ZN2at6native12_GLOBAL__N_133atomic_adaptive_average_gradinputIfEEvPT_PKS3_iiii.has_indirect_call, 0
	.section	.AMDGPU.csdata,"",@progbits
; Kernel info:
; codeLenInByte = 2660
; TotalNumSgprs: 51
; NumVgprs: 22
; ScratchSize: 0
; MemoryBound: 0
; FloatMode: 240
; IeeeMode: 1
; LDSByteSize: 0 bytes/workgroup (compile time only)
; SGPRBlocks: 6
; VGPRBlocks: 5
; NumSGPRsForWavesPerEU: 51
; NumVGPRsForWavesPerEU: 22
; Occupancy: 10
; WaveLimiterHint : 0
; COMPUTE_PGM_RSRC2:SCRATCH_EN: 0
; COMPUTE_PGM_RSRC2:USER_SGPR: 6
; COMPUTE_PGM_RSRC2:TRAP_HANDLER: 0
; COMPUTE_PGM_RSRC2:TGID_X_EN: 1
; COMPUTE_PGM_RSRC2:TGID_Y_EN: 1
; COMPUTE_PGM_RSRC2:TGID_Z_EN: 0
; COMPUTE_PGM_RSRC2:TIDIG_COMP_CNT: 1
	.section	.text._ZN2at6native12_GLOBAL__N_126adaptive_average_gradinputIfEEvPT_PKS3_iiii,"axG",@progbits,_ZN2at6native12_GLOBAL__N_126adaptive_average_gradinputIfEEvPT_PKS3_iiii,comdat
	.globl	_ZN2at6native12_GLOBAL__N_126adaptive_average_gradinputIfEEvPT_PKS3_iiii ; -- Begin function _ZN2at6native12_GLOBAL__N_126adaptive_average_gradinputIfEEvPT_PKS3_iiii
	.p2align	8
	.type	_ZN2at6native12_GLOBAL__N_126adaptive_average_gradinputIfEEvPT_PKS3_iiii,@function
_ZN2at6native12_GLOBAL__N_126adaptive_average_gradinputIfEEvPT_PKS3_iiii: ; @_ZN2at6native12_GLOBAL__N_126adaptive_average_gradinputIfEEvPT_PKS3_iiii
; %bb.0:
	s_load_dword s2, s[4:5], 0x2c
	s_load_dwordx4 s[8:11], s[4:5], 0x10
	s_add_u32 s0, s4, 32
	s_addc_u32 s1, s5, 0
	s_waitcnt lgkmcnt(0)
	s_lshr_b32 s3, s2, 16
	s_mul_i32 s7, s7, s3
	v_add_u32_e32 v13, s7, v1
	v_cmp_gt_i32_e32 vcc, s8, v13
	s_and_saveexec_b64 s[12:13], vcc
	s_cbranch_execz .LBB15_28
; %bb.1:
	s_load_dwordx4 s[12:15], s[4:5], 0x0
	s_mul_i32 s4, s10, s6
	s_mul_i32 s4, s4, s11
	s_ashr_i32 s5, s4, 31
	s_lshl_b64 s[4:5], s[4:5], 2
	s_waitcnt lgkmcnt(0)
	s_add_u32 s33, s14, s4
	s_mul_i32 s4, s8, s6
	s_mul_i32 s4, s4, s9
	s_addc_u32 s36, s15, s5
	s_ashr_i32 s5, s4, 31
	s_load_dword s39, s[0:1], 0x4
	s_lshl_b64 s[0:1], s[4:5], 2
	s_add_u32 s37, s12, s0
	s_addc_u32 s38, s13, s1
	s_abs_i32 s41, s8
	v_cvt_f32_u32_e32 v1, s41
	s_abs_i32 s47, s9
	v_cvt_f32_u32_e32 v2, s47
	;; [unrolled: 2-line block ×3, first 2 shown]
	s_abs_i32 s52, s11
	v_rcp_iflag_f32_e32 v1, v1
	v_cvt_f32_u32_e32 v5, s52
	v_rcp_iflag_f32_e32 v2, v2
	v_rcp_iflag_f32_e32 v4, v4
	v_mul_f32_e32 v1, 0x4f7ffffe, v1
	v_rcp_iflag_f32_e32 v5, v5
	v_cvt_u32_f32_e32 v1, v1
	v_mul_f32_e32 v2, 0x4f7ffffe, v2
	v_cvt_u32_f32_e32 v2, v2
	v_mul_f32_e32 v4, 0x4f7ffffe, v4
	s_and_b32 s40, s2, 0xffff
	s_sub_i32 s2, 0, s41
	v_cvt_u32_f32_e32 v4, v4
	v_mul_f32_e32 v5, 0x4f7ffffe, v5
	v_mul_lo_u32 v3, s2, v1
	v_cvt_u32_f32_e32 v5, v5
	s_sub_i32 s2, 0, s47
	v_mul_lo_u32 v6, s2, v2
	s_sub_i32 s2, 0, s51
	v_mul_lo_u32 v7, s2, v4
	s_sub_i32 s2, 0, s52
	v_mul_hi_u32 v3, v1, v3
	v_mul_lo_u32 v8, s2, v5
	s_ashr_i32 s44, s8, 31
	s_waitcnt lgkmcnt(0)
	s_mul_i32 s39, s39, s3
	v_add_u32_e32 v14, v1, v3
	v_mul_hi_u32 v3, v2, v6
	v_mul_hi_u32 v6, v4, v7
	;; [unrolled: 1-line block ×3, first 2 shown]
	s_ashr_i32 s42, s10, 31
	s_mov_b32 s43, s10
	s_mov_b32 s45, s8
	v_cmp_gt_i32_e64 s[0:1], s9, v0
	s_ashr_i32 s46, s11, 31
	s_mov_b32 s48, s11
	s_ashr_i32 s49, s9, 31
	s_mov_b32 s50, s9
	v_mov_b32_e32 v1, 0
	v_add_u32_e32 v15, v2, v3
	v_add_u32_e32 v16, v4, v6
	;; [unrolled: 1-line block ×3, first 2 shown]
	s_sub_i32 s53, 0, s11
	s_mov_b64 s[12:13], 0
	s_ashr_i32 s14, s44, 31
	s_branch .LBB15_3
.LBB15_2:                               ;   in Loop: Header=BB15_3 Depth=1
	s_or_b64 exec, exec, s[16:17]
	v_add_u32_e32 v13, s39, v13
	v_cmp_le_i32_e32 vcc, s8, v13
	s_or_b64 s[12:13], vcc, s[12:13]
	s_andn2_b64 exec, exec, s[12:13]
	s_cbranch_execz .LBB15_28
.LBB15_3:                               ; =>This Loop Header: Depth=1
                                        ;     Child Loop BB15_10 Depth 2
                                        ;       Child Loop BB15_17 Depth 3
                                        ;         Child Loop BB15_24 Depth 4
	v_add_u32_e32 v2, 1, v13
	v_mad_i64_i32 v[3:4], s[2:3], v2, s43, -1
                                        ; implicit-def: $vgpr5_vgpr6
	v_or_b32_e32 v2, s44, v4
	v_cmp_ne_u64_e32 vcc, 0, v[1:2]
	s_and_saveexec_b64 s[2:3], vcc
	s_xor_b64 s[4:5], exec, s[2:3]
	s_cbranch_execnz .LBB15_6
; %bb.4:                                ;   in Loop: Header=BB15_3 Depth=1
	s_andn2_saveexec_b64 s[2:3], s[4:5]
	s_cbranch_execnz .LBB15_7
.LBB15_5:                               ;   in Loop: Header=BB15_3 Depth=1
	s_or_b64 exec, exec, s[2:3]
	s_and_saveexec_b64 s[16:17], s[0:1]
	s_cbranch_execz .LBB15_2
	s_branch .LBB15_8
.LBB15_6:                               ;   in Loop: Header=BB15_3 Depth=1
	s_add_u32 s2, s45, s14
	s_mov_b32 s15, s14
	s_addc_u32 s3, s44, s14
	s_xor_b64 s[6:7], s[2:3], s[14:15]
	v_cvt_f32_u32_e32 v2, s6
	v_cvt_f32_u32_e32 v5, s7
	s_sub_u32 s15, 0, s6
	s_subb_u32 s16, 0, s7
	v_ashrrev_i32_e32 v6, 31, v4
	v_mac_f32_e32 v2, 0x4f800000, v5
	v_rcp_f32_e32 v2, v2
	v_mul_f32_e32 v2, 0x5f7ffffc, v2
	v_mul_f32_e32 v5, 0x2f800000, v2
	v_trunc_f32_e32 v5, v5
	v_mac_f32_e32 v2, 0xcf800000, v5
	v_cvt_u32_f32_e32 v5, v5
	v_cvt_u32_f32_e32 v2, v2
	v_readfirstlane_b32 s17, v5
	v_readfirstlane_b32 s2, v2
	s_mul_i32 s3, s15, s17
	s_mul_hi_u32 s19, s15, s2
	s_mul_i32 s18, s16, s2
	s_add_i32 s3, s19, s3
	s_add_i32 s3, s3, s18
	s_mul_i32 s20, s15, s2
	s_mul_i32 s19, s2, s3
	s_mul_hi_u32 s21, s2, s20
	s_mul_hi_u32 s18, s2, s3
	s_add_u32 s19, s21, s19
	s_addc_u32 s18, 0, s18
	s_mul_hi_u32 s22, s17, s20
	s_mul_i32 s20, s17, s20
	s_add_u32 s19, s19, s20
	s_mul_hi_u32 s21, s17, s3
	s_addc_u32 s18, s18, s22
	s_addc_u32 s19, s21, 0
	s_mul_i32 s3, s17, s3
	s_add_u32 s3, s18, s3
	s_addc_u32 s18, 0, s19
	s_add_u32 s19, s2, s3
	s_cselect_b64 s[2:3], -1, 0
	s_cmp_lg_u64 s[2:3], 0
	s_addc_u32 s17, s17, s18
	s_mul_i32 s2, s15, s17
	s_mul_hi_u32 s3, s15, s19
	s_add_i32 s2, s3, s2
	s_mul_i32 s16, s16, s19
	s_add_i32 s2, s2, s16
	s_mul_i32 s15, s15, s19
	s_mul_hi_u32 s16, s17, s15
	s_mul_i32 s18, s17, s15
	s_mul_i32 s21, s19, s2
	s_mul_hi_u32 s15, s19, s15
	s_mul_hi_u32 s20, s19, s2
	s_add_u32 s15, s15, s21
	s_addc_u32 s20, 0, s20
	s_add_u32 s15, s15, s18
	s_mul_hi_u32 s3, s17, s2
	s_addc_u32 s15, s20, s16
	s_addc_u32 s3, s3, 0
	s_mul_i32 s2, s17, s2
	s_add_u32 s2, s15, s2
	s_addc_u32 s15, 0, s3
	s_add_u32 s16, s19, s2
	s_cselect_b64 s[2:3], -1, 0
	s_cmp_lg_u64 s[2:3], 0
	v_add_co_u32_e32 v2, vcc, v3, v6
	s_addc_u32 s15, s17, s15
	v_xor_b32_e32 v7, v2, v6
	v_mad_u64_u32 v[2:3], s[2:3], v7, s15, 0
	v_mul_hi_u32 v5, v7, s16
	v_addc_co_u32_e32 v4, vcc, v4, v6, vcc
	v_xor_b32_e32 v8, v4, v6
	v_add_co_u32_e32 v9, vcc, v5, v2
	v_addc_co_u32_e32 v10, vcc, 0, v3, vcc
	v_mad_u64_u32 v[2:3], s[2:3], v8, s16, 0
	v_mad_u64_u32 v[4:5], s[2:3], v8, s15, 0
	v_add_co_u32_e32 v2, vcc, v9, v2
	v_addc_co_u32_e32 v2, vcc, v10, v3, vcc
	v_addc_co_u32_e32 v3, vcc, 0, v5, vcc
	v_add_co_u32_e32 v4, vcc, v2, v4
	v_addc_co_u32_e32 v2, vcc, 0, v3, vcc
	v_mul_lo_u32 v5, s7, v4
	v_mul_lo_u32 v9, s6, v2
	v_mad_u64_u32 v[2:3], s[2:3], s6, v4, 0
	v_add3_u32 v3, v3, v9, v5
	v_sub_u32_e32 v5, v8, v3
	v_mov_b32_e32 v9, s7
	v_sub_co_u32_e32 v2, vcc, v7, v2
	v_subb_co_u32_e64 v5, s[2:3], v5, v9, vcc
	v_subrev_co_u32_e64 v7, s[2:3], s6, v2
	v_subbrev_co_u32_e64 v5, s[2:3], 0, v5, s[2:3]
	v_cmp_le_u32_e64 s[2:3], s7, v5
	v_subb_co_u32_e32 v3, vcc, v8, v3, vcc
	v_cndmask_b32_e64 v9, 0, -1, s[2:3]
	v_cmp_le_u32_e64 s[2:3], s6, v7
	v_cmp_le_u32_e32 vcc, s7, v3
	v_cndmask_b32_e64 v7, 0, -1, s[2:3]
	v_cmp_eq_u32_e64 s[2:3], s7, v5
	v_cndmask_b32_e64 v8, 0, -1, vcc
	v_cmp_le_u32_e32 vcc, s6, v2
	v_cndmask_b32_e64 v5, v9, v7, s[2:3]
	v_cndmask_b32_e64 v2, 0, -1, vcc
	v_cmp_eq_u32_e32 vcc, s7, v3
	v_add_co_u32_e64 v7, s[2:3], 2, v4
	v_add_co_u32_e64 v9, s[2:3], 1, v4
	v_cndmask_b32_e32 v2, v8, v2, vcc
	v_cmp_ne_u32_e32 vcc, 0, v5
	v_cndmask_b32_e32 v3, v9, v7, vcc
	v_cmp_ne_u32_e32 vcc, 0, v2
	v_cndmask_b32_e32 v2, v4, v3, vcc
	v_xor_b32_e32 v3, s14, v6
	v_xor_b32_e32 v2, v2, v3
	v_sub_co_u32_e32 v5, vcc, v2, v3
                                        ; implicit-def: $vgpr3_vgpr4
	s_andn2_saveexec_b64 s[2:3], s[4:5]
	s_cbranch_execz .LBB15_5
.LBB15_7:                               ;   in Loop: Header=BB15_3 Depth=1
	v_cvt_f32_u32_e32 v2, s45
	s_sub_i32 s4, 0, s45
	v_rcp_iflag_f32_e32 v2, v2
	v_mul_f32_e32 v2, 0x4f7ffffe, v2
	v_cvt_u32_f32_e32 v2, v2
	v_mul_lo_u32 v4, s4, v2
	v_mul_hi_u32 v4, v2, v4
	v_add_u32_e32 v2, v2, v4
	v_mul_hi_u32 v2, v3, v2
	v_mul_lo_u32 v4, v2, s45
	v_add_u32_e32 v5, 1, v2
	v_sub_u32_e32 v3, v3, v4
	v_subrev_u32_e32 v4, s45, v3
	v_cmp_le_u32_e32 vcc, s45, v3
	v_cndmask_b32_e32 v3, v3, v4, vcc
	v_cndmask_b32_e32 v2, v2, v5, vcc
	v_add_u32_e32 v4, 1, v2
	v_cmp_le_u32_e32 vcc, s45, v3
	v_cndmask_b32_e32 v5, v2, v4, vcc
	s_or_b64 exec, exec, s[2:3]
	s_and_saveexec_b64 s[16:17], s[0:1]
	s_cbranch_execz .LBB15_2
.LBB15_8:                               ;   in Loop: Header=BB15_3 Depth=1
	v_sub_u32_e32 v2, 0, v13
	v_max_i32_e32 v2, v13, v2
	v_mul_hi_u32 v3, v2, v14
	v_ashrrev_i32_e32 v6, 31, v13
	v_xor_b32_e32 v6, s44, v6
	v_add_u32_e32 v18, 1, v5
	v_mul_lo_u32 v4, v3, s41
	v_add_u32_e32 v7, 1, v3
	s_mov_b64 s[18:19], 0
	v_sub_u32_e32 v2, v2, v4
	v_cmp_le_u32_e32 vcc, s41, v2
	v_subrev_u32_e32 v4, s41, v2
	v_cndmask_b32_e32 v3, v3, v7, vcc
	v_cndmask_b32_e32 v2, v2, v4, vcc
	v_add_u32_e32 v4, 1, v3
	v_cmp_le_u32_e32 vcc, s41, v2
	v_cndmask_b32_e32 v2, v3, v4, vcc
	v_xor_b32_e32 v2, v2, v6
	v_sub_u32_e32 v3, v2, v6
	v_mul_lo_u32 v2, v3, s8
	v_mul_lo_u32 v6, v13, s9
	v_sub_u32_e32 v2, v13, v2
	v_mul_lo_u32 v2, v2, s10
	v_ashrrev_i32_e32 v7, 31, v6
	v_sub_u32_e32 v4, 0, v2
	v_max_i32_e32 v4, v2, v4
	v_mul_hi_u32 v8, v4, v14
	v_ashrrev_i32_e32 v2, 31, v2
	v_xor_b32_e32 v2, s44, v2
	v_mul_lo_u32 v5, v8, s41
	v_add_u32_e32 v9, 1, v8
	v_sub_u32_e32 v4, v4, v5
	v_cmp_le_u32_e32 vcc, s41, v4
	v_cndmask_b32_e32 v5, v8, v9, vcc
	v_subrev_u32_e32 v8, s41, v4
	v_cndmask_b32_e32 v4, v4, v8, vcc
	v_add_u32_e32 v8, 1, v5
	v_cmp_le_u32_e32 vcc, s41, v4
	v_cndmask_b32_e32 v4, v5, v8, vcc
	v_xor_b32_e32 v4, v4, v2
	v_sub_u32_e32 v2, v4, v2
	v_mad_u64_u32 v[3:4], s[2:3], v3, s10, v[2:3]
	v_lshlrev_b64 v[4:5], 2, v[6:7]
	v_mov_b32_e32 v2, s38
	v_mul_lo_u32 v21, s11, v3
	v_add_co_u32_e32 v19, vcc, s37, v4
	v_addc_co_u32_e32 v20, vcc, v2, v5, vcc
	v_cmp_lt_i32_e64 s[2:3], v3, v18
	v_mov_b32_e32 v4, v0
	s_branch .LBB15_10
.LBB15_9:                               ;   in Loop: Header=BB15_10 Depth=2
	s_or_b64 exec, exec, s[20:21]
	v_add_u32_e32 v4, s40, v4
	v_cmp_le_i32_e32 vcc, s9, v4
	s_or_b64 s[18:19], vcc, s[18:19]
	s_andn2_b64 exec, exec, s[18:19]
	s_cbranch_execz .LBB15_2
.LBB15_10:                              ;   Parent Loop BB15_3 Depth=1
                                        ; =>  This Loop Header: Depth=2
                                        ;       Child Loop BB15_17 Depth 3
                                        ;         Child Loop BB15_24 Depth 4
	v_add_u32_e32 v7, 1, v4
	v_mad_u64_u32 v[5:6], s[4:5], v7, s48, -1
	v_mov_b32_e32 v2, v6
	v_mad_u64_u32 v[6:7], s[4:5], v7, s46, v[2:3]
                                        ; implicit-def: $vgpr7_vgpr8
	v_or_b32_e32 v2, s49, v6
	v_cmp_ne_u64_e32 vcc, 0, v[1:2]
	v_mov_b32_e32 v2, v6
	s_and_saveexec_b64 s[4:5], vcc
	s_xor_b64 s[6:7], exec, s[4:5]
	s_cbranch_execnz .LBB15_13
; %bb.11:                               ;   in Loop: Header=BB15_10 Depth=2
	s_andn2_saveexec_b64 s[4:5], s[6:7]
	s_cbranch_execnz .LBB15_14
.LBB15_12:                              ;   in Loop: Header=BB15_10 Depth=2
	s_or_b64 exec, exec, s[4:5]
	v_mov_b32_e32 v5, v1
	s_and_saveexec_b64 s[20:21], s[2:3]
	s_cbranch_execz .LBB15_9
	s_branch .LBB15_15
.LBB15_13:                              ;   in Loop: Header=BB15_10 Depth=2
	s_ashr_i32 s20, s49, 31
	s_add_u32 s4, s50, s20
	s_mov_b32 s21, s20
	s_addc_u32 s5, s49, s20
	s_xor_b64 s[22:23], s[4:5], s[20:21]
	v_cvt_f32_u32_e32 v6, s22
	v_cvt_f32_u32_e32 v7, s23
	s_sub_u32 s15, 0, s22
	s_subb_u32 s21, 0, s23
	v_ashrrev_i32_e32 v9, 31, v2
	v_mac_f32_e32 v6, 0x4f800000, v7
	v_rcp_f32_e32 v6, v6
	v_add_co_u32_e32 v5, vcc, v5, v9
	v_xor_b32_e32 v10, v5, v9
	v_mul_f32_e32 v6, 0x5f7ffffc, v6
	v_mul_f32_e32 v7, 0x2f800000, v6
	v_trunc_f32_e32 v7, v7
	v_mac_f32_e32 v6, 0xcf800000, v7
	v_cvt_u32_f32_e32 v7, v7
	v_cvt_u32_f32_e32 v6, v6
	v_addc_co_u32_e32 v2, vcc, v2, v9, vcc
	v_readfirstlane_b32 s24, v7
	v_readfirstlane_b32 s4, v6
	s_mul_i32 s5, s15, s24
	s_mul_hi_u32 s26, s15, s4
	s_mul_i32 s25, s21, s4
	s_add_i32 s5, s26, s5
	s_add_i32 s5, s5, s25
	s_mul_i32 s27, s15, s4
	s_mul_i32 s26, s4, s5
	s_mul_hi_u32 s28, s4, s27
	s_mul_hi_u32 s25, s4, s5
	s_add_u32 s26, s28, s26
	s_addc_u32 s25, 0, s25
	s_mul_hi_u32 s29, s24, s27
	s_mul_i32 s27, s24, s27
	s_add_u32 s26, s26, s27
	s_mul_hi_u32 s28, s24, s5
	s_addc_u32 s25, s25, s29
	s_addc_u32 s26, s28, 0
	s_mul_i32 s5, s24, s5
	s_add_u32 s5, s25, s5
	s_addc_u32 s25, 0, s26
	s_add_u32 s26, s4, s5
	s_cselect_b64 s[4:5], -1, 0
	s_cmp_lg_u64 s[4:5], 0
	s_addc_u32 s24, s24, s25
	s_mul_i32 s4, s15, s24
	s_mul_hi_u32 s5, s15, s26
	s_add_i32 s4, s5, s4
	s_mul_i32 s21, s21, s26
	s_add_i32 s4, s4, s21
	s_mul_i32 s15, s15, s26
	s_mul_hi_u32 s21, s24, s15
	s_mul_i32 s25, s24, s15
	s_mul_i32 s28, s26, s4
	s_mul_hi_u32 s15, s26, s15
	s_mul_hi_u32 s27, s26, s4
	s_add_u32 s15, s15, s28
	s_addc_u32 s27, 0, s27
	s_add_u32 s15, s15, s25
	s_mul_hi_u32 s5, s24, s4
	s_addc_u32 s15, s27, s21
	s_addc_u32 s5, s5, 0
	s_mul_i32 s4, s24, s4
	s_add_u32 s4, s15, s4
	s_addc_u32 s15, 0, s5
	s_add_u32 s21, s26, s4
	s_cselect_b64 s[4:5], -1, 0
	s_cmp_lg_u64 s[4:5], 0
	s_addc_u32 s15, s24, s15
	v_mad_u64_u32 v[5:6], s[4:5], v10, s15, 0
	v_mul_hi_u32 v7, v10, s21
	v_xor_b32_e32 v2, v2, v9
	v_add_co_u32_e32 v11, vcc, v7, v5
	v_addc_co_u32_e32 v12, vcc, 0, v6, vcc
	v_mad_u64_u32 v[5:6], s[4:5], v2, s21, 0
	v_mad_u64_u32 v[7:8], s[4:5], v2, s15, 0
	v_add_co_u32_e32 v5, vcc, v11, v5
	v_addc_co_u32_e32 v5, vcc, v12, v6, vcc
	v_addc_co_u32_e32 v6, vcc, 0, v8, vcc
	v_add_co_u32_e32 v7, vcc, v5, v7
	v_addc_co_u32_e32 v5, vcc, 0, v6, vcc
	v_mul_lo_u32 v8, s23, v7
	v_mul_lo_u32 v11, s22, v5
	v_mad_u64_u32 v[5:6], s[4:5], s22, v7, 0
	v_add3_u32 v6, v6, v11, v8
	v_sub_u32_e32 v8, v2, v6
	v_mov_b32_e32 v11, s23
	v_sub_co_u32_e32 v5, vcc, v10, v5
	v_subb_co_u32_e64 v8, s[4:5], v8, v11, vcc
	v_subrev_co_u32_e64 v10, s[4:5], s22, v5
	v_subbrev_co_u32_e64 v8, s[4:5], 0, v8, s[4:5]
	v_cmp_le_u32_e64 s[4:5], s23, v8
	v_subb_co_u32_e32 v2, vcc, v2, v6, vcc
	v_cndmask_b32_e64 v11, 0, -1, s[4:5]
	v_cmp_le_u32_e64 s[4:5], s22, v10
	v_cmp_le_u32_e32 vcc, s23, v2
	v_cndmask_b32_e64 v10, 0, -1, s[4:5]
	v_cmp_eq_u32_e64 s[4:5], s23, v8
	v_cndmask_b32_e64 v6, 0, -1, vcc
	v_cmp_le_u32_e32 vcc, s22, v5
	v_cndmask_b32_e64 v8, v11, v10, s[4:5]
	v_cndmask_b32_e64 v5, 0, -1, vcc
	v_cmp_eq_u32_e32 vcc, s23, v2
	v_add_co_u32_e64 v10, s[4:5], 2, v7
	v_add_co_u32_e64 v11, s[4:5], 1, v7
	v_cndmask_b32_e32 v2, v6, v5, vcc
	v_cmp_ne_u32_e32 vcc, 0, v8
	v_cndmask_b32_e32 v5, v11, v10, vcc
	v_cmp_ne_u32_e32 vcc, 0, v2
	v_cndmask_b32_e32 v2, v7, v5, vcc
	v_xor_b32_e32 v5, s20, v9
	v_xor_b32_e32 v2, v2, v5
	v_sub_co_u32_e32 v7, vcc, v2, v5
                                        ; implicit-def: $vgpr5_vgpr6
	s_andn2_saveexec_b64 s[4:5], s[6:7]
	s_cbranch_execz .LBB15_12
.LBB15_14:                              ;   in Loop: Header=BB15_10 Depth=2
	v_cvt_f32_u32_e32 v2, s50
	s_sub_i32 s6, 0, s50
	v_rcp_iflag_f32_e32 v2, v2
	v_mul_f32_e32 v2, 0x4f7ffffe, v2
	v_cvt_u32_f32_e32 v2, v2
	v_mul_lo_u32 v6, s6, v2
	v_mul_hi_u32 v6, v2, v6
	v_add_u32_e32 v2, v2, v6
	v_mul_hi_u32 v2, v5, v2
	v_mul_lo_u32 v6, v2, s50
	v_add_u32_e32 v7, 1, v2
	v_sub_u32_e32 v5, v5, v6
	v_subrev_u32_e32 v6, s50, v5
	v_cmp_le_u32_e32 vcc, s50, v5
	v_cndmask_b32_e32 v5, v5, v6, vcc
	v_cndmask_b32_e32 v2, v2, v7, vcc
	v_add_u32_e32 v6, 1, v2
	v_cmp_le_u32_e32 vcc, s50, v5
	v_cndmask_b32_e32 v7, v2, v6, vcc
	s_or_b64 exec, exec, s[4:5]
	v_mov_b32_e32 v5, v1
	s_and_saveexec_b64 s[20:21], s[2:3]
	s_cbranch_execz .LBB15_9
.LBB15_15:                              ;   in Loop: Header=BB15_10 Depth=2
	v_mul_hi_u32 v2, v4, v15
	v_add_u32_e32 v22, 1, v7
	v_lshlrev_b64 v[7:8], 2, v[4:5]
	v_mul_lo_u32 v5, v4, s11
	v_mul_lo_u32 v6, v2, s47
	v_add_u32_e32 v9, 1, v2
	s_mov_b64 s[22:23], 0
	v_sub_u32_e32 v10, 0, v5
	v_max_i32_e32 v10, v5, v10
	v_sub_u32_e32 v6, v4, v6
	v_mul_hi_u32 v11, v10, v15
	v_cmp_le_u32_e32 vcc, s47, v6
	v_cndmask_b32_e32 v2, v2, v9, vcc
	v_subrev_u32_e32 v9, s47, v6
	v_cndmask_b32_e32 v6, v6, v9, vcc
	v_cmp_le_u32_e32 vcc, s47, v6
	v_mul_lo_u32 v6, v11, s47
	v_add_u32_e32 v9, 1, v2
	v_cndmask_b32_e32 v2, v2, v9, vcc
	v_xor_b32_e32 v2, s49, v2
	v_subrev_u32_e32 v9, s49, v2
	v_ashrrev_i32_e32 v2, 31, v5
	v_sub_u32_e32 v5, v10, v6
	v_add_u32_e32 v6, 1, v11
	v_cmp_le_u32_e32 vcc, s47, v5
	v_subrev_u32_e32 v10, s47, v5
	v_cndmask_b32_e32 v6, v11, v6, vcc
	v_cndmask_b32_e32 v5, v5, v10, vcc
	v_add_u32_e32 v10, 1, v6
	v_cmp_le_u32_e32 vcc, s47, v5
	v_xor_b32_e32 v2, s49, v2
	v_cndmask_b32_e32 v5, v6, v10, vcc
	v_xor_b32_e32 v5, v5, v2
	v_sub_u32_e32 v2, v5, v2
	v_mad_u64_u32 v[5:6], s[4:5], v9, s11, v[2:3]
	v_add_co_u32_e32 v6, vcc, v19, v7
	v_addc_co_u32_e32 v7, vcc, v20, v8, vcc
	v_cmp_lt_i32_e64 s[4:5], v5, v22
	v_mov_b32_e32 v23, v21
	v_mov_b32_e32 v12, v3
	s_branch .LBB15_17
.LBB15_16:                              ;   in Loop: Header=BB15_17 Depth=3
	s_or_b64 exec, exec, s[24:25]
	v_cmp_ge_i32_e32 vcc, v24, v18
	v_add_u32_e32 v23, s11, v23
	s_or_b64 s[22:23], vcc, s[22:23]
	v_mov_b32_e32 v12, v24
	s_andn2_b64 exec, exec, s[22:23]
	s_cbranch_execz .LBB15_9
.LBB15_17:                              ;   Parent Loop BB15_3 Depth=1
                                        ;     Parent Loop BB15_10 Depth=2
                                        ; =>    This Loop Header: Depth=3
                                        ;         Child Loop BB15_24 Depth 4
	v_add_u32_e32 v24, 1, v12
	s_and_saveexec_b64 s[24:25], s[4:5]
	s_cbranch_execz .LBB15_16
; %bb.18:                               ;   in Loop: Header=BB15_17 Depth=3
	v_mad_i64_i32 v[8:9], s[6:7], v24, s45, -1
                                        ; implicit-def: $vgpr10_vgpr11
	v_or_b32_e32 v2, s42, v9
	v_cmp_ne_u64_e32 vcc, 0, v[1:2]
	s_and_saveexec_b64 s[6:7], vcc
	s_xor_b64 s[26:27], exec, s[6:7]
	s_cbranch_execz .LBB15_20
; %bb.19:                               ;   in Loop: Header=BB15_17 Depth=3
	s_ashr_i32 s28, s42, 31
	s_add_u32 s6, s43, s28
	s_mov_b32 s29, s28
	s_addc_u32 s7, s42, s28
	s_xor_b64 s[30:31], s[6:7], s[28:29]
	v_cvt_f32_u32_e32 v2, s30
	v_cvt_f32_u32_e32 v10, s31
	s_sub_u32 s15, 0, s30
	s_subb_u32 s29, 0, s31
	v_mac_f32_e32 v2, 0x4f800000, v10
	v_rcp_f32_e32 v2, v2
	v_mul_f32_e32 v2, 0x5f7ffffc, v2
	v_mul_f32_e32 v10, 0x2f800000, v2
	v_trunc_f32_e32 v10, v10
	v_mac_f32_e32 v2, 0xcf800000, v10
	v_cvt_u32_f32_e32 v10, v10
	v_cvt_u32_f32_e32 v2, v2
	v_readfirstlane_b32 s34, v10
	v_readfirstlane_b32 s6, v2
	s_mul_i32 s7, s15, s34
	s_mul_hi_u32 s54, s15, s6
	s_mul_i32 s35, s29, s6
	s_add_i32 s7, s54, s7
	s_add_i32 s7, s7, s35
	s_mul_i32 s55, s15, s6
	s_mul_i32 s54, s6, s7
	s_mul_hi_u32 s56, s6, s55
	s_mul_hi_u32 s35, s6, s7
	s_add_u32 s54, s56, s54
	s_addc_u32 s35, 0, s35
	s_mul_hi_u32 s57, s34, s55
	s_mul_i32 s55, s34, s55
	s_add_u32 s54, s54, s55
	s_mul_hi_u32 s56, s34, s7
	s_addc_u32 s35, s35, s57
	s_addc_u32 s54, s56, 0
	s_mul_i32 s7, s34, s7
	s_add_u32 s7, s35, s7
	s_addc_u32 s35, 0, s54
	s_add_u32 s54, s6, s7
	s_cselect_b64 s[6:7], -1, 0
	s_cmp_lg_u64 s[6:7], 0
	s_addc_u32 s34, s34, s35
	s_mul_i32 s6, s15, s34
	s_mul_hi_u32 s7, s15, s54
	s_add_i32 s6, s7, s6
	s_mul_i32 s29, s29, s54
	s_add_i32 s6, s6, s29
	s_mul_i32 s15, s15, s54
	s_mul_hi_u32 s29, s34, s15
	s_mul_i32 s35, s34, s15
	s_mul_i32 s56, s54, s6
	s_mul_hi_u32 s15, s54, s15
	s_mul_hi_u32 s55, s54, s6
	s_add_u32 s15, s15, s56
	s_addc_u32 s55, 0, s55
	s_add_u32 s15, s15, s35
	s_mul_hi_u32 s7, s34, s6
	s_addc_u32 s15, s55, s29
	s_addc_u32 s7, s7, 0
	s_mul_i32 s6, s34, s6
	s_add_u32 s6, s15, s6
	s_addc_u32 s15, 0, s7
	s_add_u32 s29, s54, s6
	s_cselect_b64 s[6:7], -1, 0
	v_ashrrev_i32_e32 v2, 31, v9
	s_cmp_lg_u64 s[6:7], 0
	v_add_co_u32_e32 v8, vcc, v8, v2
	s_addc_u32 s15, s34, s15
	v_xor_b32_e32 v25, v8, v2
	v_addc_co_u32_e32 v10, vcc, v9, v2, vcc
	v_mad_u64_u32 v[8:9], s[6:7], v25, s15, 0
	v_mul_hi_u32 v11, v25, s29
	v_xor_b32_e32 v26, v10, v2
	v_xor_b32_e32 v2, s28, v2
	v_add_co_u32_e32 v27, vcc, v11, v8
	v_addc_co_u32_e32 v28, vcc, 0, v9, vcc
	v_mad_u64_u32 v[8:9], s[6:7], v26, s29, 0
	v_mad_u64_u32 v[10:11], s[6:7], v26, s15, 0
	v_add_co_u32_e32 v8, vcc, v27, v8
	v_addc_co_u32_e32 v8, vcc, v28, v9, vcc
	v_addc_co_u32_e32 v9, vcc, 0, v11, vcc
	v_add_co_u32_e32 v10, vcc, v8, v10
	v_addc_co_u32_e32 v8, vcc, 0, v9, vcc
	v_mul_lo_u32 v11, s31, v10
	v_mul_lo_u32 v27, s30, v8
	v_mad_u64_u32 v[8:9], s[6:7], s30, v10, 0
	v_add3_u32 v9, v9, v27, v11
	v_sub_u32_e32 v11, v26, v9
	v_mov_b32_e32 v27, s31
	v_sub_co_u32_e32 v8, vcc, v25, v8
	v_subb_co_u32_e64 v11, s[6:7], v11, v27, vcc
	v_subrev_co_u32_e64 v25, s[6:7], s30, v8
	v_subbrev_co_u32_e64 v11, s[6:7], 0, v11, s[6:7]
	v_cmp_le_u32_e64 s[6:7], s31, v11
	v_subb_co_u32_e32 v9, vcc, v26, v9, vcc
	v_cndmask_b32_e64 v27, 0, -1, s[6:7]
	v_cmp_le_u32_e64 s[6:7], s30, v25
	v_cmp_le_u32_e32 vcc, s31, v9
	v_cndmask_b32_e64 v25, 0, -1, s[6:7]
	v_cmp_eq_u32_e64 s[6:7], s31, v11
	v_cndmask_b32_e64 v26, 0, -1, vcc
	v_cmp_le_u32_e32 vcc, s30, v8
	v_cndmask_b32_e64 v11, v27, v25, s[6:7]
	v_cndmask_b32_e64 v8, 0, -1, vcc
	v_cmp_eq_u32_e32 vcc, s31, v9
	v_add_co_u32_e64 v25, s[6:7], 2, v10
	v_add_co_u32_e64 v27, s[6:7], 1, v10
	v_cndmask_b32_e32 v8, v26, v8, vcc
	v_cmp_ne_u32_e32 vcc, 0, v11
	v_cndmask_b32_e32 v9, v27, v25, vcc
	v_cmp_ne_u32_e32 vcc, 0, v8
	v_cndmask_b32_e32 v8, v10, v9, vcc
	v_xor_b32_e32 v8, v8, v2
	v_sub_co_u32_e32 v10, vcc, v8, v2
                                        ; implicit-def: $vgpr8_vgpr9
.LBB15_20:                              ;   in Loop: Header=BB15_17 Depth=3
	s_andn2_saveexec_b64 s[26:27], s[26:27]
	s_cbranch_execz .LBB15_22
; %bb.21:                               ;   in Loop: Header=BB15_17 Depth=3
	v_cvt_f32_u32_e32 v2, s43
	s_sub_i32 s6, 0, s43
	v_rcp_iflag_f32_e32 v2, v2
	v_mul_f32_e32 v2, 0x4f7ffffe, v2
	v_cvt_u32_f32_e32 v2, v2
	v_mul_lo_u32 v9, s6, v2
	v_mul_hi_u32 v9, v2, v9
	v_add_u32_e32 v2, v2, v9
	v_mul_hi_u32 v2, v8, v2
	v_mul_lo_u32 v9, v2, s43
	v_sub_u32_e32 v8, v8, v9
	v_cmp_le_u32_e32 vcc, s43, v8
	v_subrev_u32_e32 v9, s43, v8
	v_cndmask_b32_e32 v8, v8, v9, vcc
	v_cmp_le_u32_e64 s[6:7], s43, v8
	v_add_u32_e32 v8, 1, v2
	v_cndmask_b32_e32 v2, v2, v8, vcc
	v_add_u32_e32 v8, 1, v2
	v_cndmask_b32_e64 v10, v2, v8, s[6:7]
.LBB15_22:                              ;   in Loop: Header=BB15_17 Depth=3
	s_or_b64 exec, exec, s[26:27]
	global_load_dword v25, v[6:7], off
	v_sub_u32_e32 v2, 0, v12
	v_max_i32_e32 v2, v12, v2
	v_mul_hi_u32 v8, v2, v16
	v_ashrrev_i32_e32 v11, 31, v12
	v_xor_b32_e32 v11, s42, v11
	s_mov_b64 s[26:27], 0
	v_mul_lo_u32 v9, v8, s51
	v_sub_u32_e32 v2, v2, v9
	v_add_u32_e32 v9, 1, v8
	v_cmp_le_u32_e32 vcc, s51, v2
	v_cndmask_b32_e32 v8, v8, v9, vcc
	v_subrev_u32_e32 v9, s51, v2
	v_cndmask_b32_e32 v2, v2, v9, vcc
	v_add_u32_e32 v9, 1, v8
	v_cmp_le_u32_e32 vcc, s51, v2
	v_cndmask_b32_e32 v2, v8, v9, vcc
	v_xor_b32_e32 v2, v2, v11
	v_sub_u32_e32 v2, v2, v11
	v_mul_lo_u32 v8, v2, s10
	v_mul_lo_u32 v2, v2, s8
	v_sub_u32_e32 v8, v12, v8
	v_mul_lo_u32 v8, v8, s8
	v_sub_u32_e32 v9, 0, v8
	v_max_i32_e32 v9, v8, v9
	v_mul_hi_u32 v11, v9, v16
	v_ashrrev_i32_e32 v8, 31, v8
	v_xor_b32_e32 v8, s42, v8
	v_mul_lo_u32 v12, v11, s51
	v_sub_u32_e32 v9, v9, v12
	v_add_u32_e32 v12, 1, v11
	v_cmp_le_u32_e32 vcc, s51, v9
	v_cndmask_b32_e32 v11, v11, v12, vcc
	v_subrev_u32_e32 v12, s51, v9
	v_cndmask_b32_e32 v9, v9, v12, vcc
	v_add_u32_e32 v12, 1, v11
	v_cmp_le_u32_e32 vcc, s51, v9
	v_cndmask_b32_e32 v9, v11, v12, vcc
	v_xor_b32_e32 v9, v9, v8
	v_sub_u32_e32 v8, v9, v8
	v_not_b32_e32 v9, v10
	v_add3_u32 v2, v8, v2, v9
	v_cvt_f32_i32_e32 v26, v2
	v_add_u32_e32 v2, 1, v5
	v_mad_i64_i32 v[8:9], s[6:7], s50, v2, -1
	v_mov_b32_e32 v10, v5
	s_branch .LBB15_24
.LBB15_23:                              ;   in Loop: Header=BB15_24 Depth=4
	s_or_b64 exec, exec, s[6:7]
	v_add_u32_e32 v27, v23, v10
	v_ashrrev_i32_e32 v28, 31, v27
	v_lshlrev_b64 v[27:28], 2, v[27:28]
	v_mov_b32_e32 v2, s36
	v_add_co_u32_e32 v27, vcc, s33, v27
	v_addc_co_u32_e32 v28, vcc, v2, v28, vcc
	global_load_dword v2, v[27:28], off
	v_sub_u32_e32 v12, 0, v10
	v_max_i32_e32 v12, v10, v12
	v_mul_hi_u32 v27, v12, v17
	v_ashrrev_i32_e32 v29, 31, v10
	v_xor_b32_e32 v29, s46, v29
	v_mul_lo_u32 v28, v27, s52
	v_add_u32_e32 v30, 1, v27
	v_sub_u32_e32 v12, v12, v28
	v_cmp_le_u32_e32 vcc, s52, v12
	v_subrev_u32_e32 v28, s52, v12
	v_cndmask_b32_e32 v27, v27, v30, vcc
	v_cndmask_b32_e32 v12, v12, v28, vcc
	v_add_u32_e32 v28, 1, v27
	v_cmp_le_u32_e32 vcc, s52, v12
	v_cndmask_b32_e32 v12, v27, v28, vcc
	v_xor_b32_e32 v12, v12, v29
	v_sub_u32_e32 v12, v12, v29
	v_mad_u64_u32 v[27:28], s[6:7], s53, v12, v[10:11]
	v_mul_lo_u32 v12, v12, s9
	v_not_b32_e32 v11, v11
	v_mul_lo_u32 v27, v27, s9
	v_add_u32_e32 v10, 1, v10
	v_sub_u32_e32 v29, 0, v27
	v_max_i32_e32 v29, v27, v29
	v_mul_hi_u32 v31, v29, v17
	v_ashrrev_i32_e32 v27, 31, v27
	v_xor_b32_e32 v27, s46, v27
	v_mul_lo_u32 v33, v31, s52
	v_sub_u32_e32 v29, v29, v33
	s_waitcnt vmcnt(0)
	v_div_scale_f32 v30, s[6:7], v26, v26, v2
	v_div_scale_f32 v28, vcc, v2, v26, v2
	v_rcp_f32_e32 v32, v30
	v_fma_f32 v34, -v30, v32, 1.0
	v_fmac_f32_e32 v32, v34, v32
	v_mul_f32_e32 v34, v28, v32
	v_fma_f32 v35, -v30, v34, v28
	v_fmac_f32_e32 v34, v35, v32
	v_fma_f32 v28, -v30, v34, v28
	v_div_fmas_f32 v28, v28, v32, v34
	v_add_u32_e32 v30, 1, v31
	v_cmp_le_u32_e32 vcc, s52, v29
	v_cndmask_b32_e32 v30, v31, v30, vcc
	v_subrev_u32_e32 v31, s52, v29
	v_cndmask_b32_e32 v29, v29, v31, vcc
	v_add_u32_e32 v31, 1, v30
	v_cmp_le_u32_e32 vcc, s52, v29
	v_cndmask_b32_e32 v29, v30, v31, vcc
	v_xor_b32_e32 v29, v29, v27
	v_sub_u32_e32 v27, v29, v27
	v_add3_u32 v11, v27, v12, v11
	v_cvt_f32_i32_e32 v11, v11
	v_div_fixup_f32 v2, v28, v26, v2
	v_div_scale_f32 v12, s[6:7], v11, v11, v2
	v_div_scale_f32 v27, vcc, v2, v11, v2
	v_rcp_f32_e32 v28, v12
	v_fma_f32 v29, -v12, v28, 1.0
	v_fmac_f32_e32 v28, v29, v28
	v_mul_f32_e32 v29, v27, v28
	v_fma_f32 v30, -v12, v29, v27
	v_fmac_f32_e32 v29, v30, v28
	v_fma_f32 v12, -v12, v29, v27
	v_div_fmas_f32 v12, v12, v28, v29
	v_mov_b32_e32 v27, s49
	v_add_co_u32_e32 v8, vcc, s50, v8
	v_addc_co_u32_e32 v9, vcc, v9, v27, vcc
	v_cmp_ge_i32_e32 vcc, v10, v22
	s_or_b64 s[26:27], vcc, s[26:27]
	v_div_fixup_f32 v2, v12, v11, v2
	v_add_f32_e32 v25, v25, v2
	global_store_dword v[6:7], v25, off
	s_andn2_b64 exec, exec, s[26:27]
	s_cbranch_execz .LBB15_16
.LBB15_24:                              ;   Parent Loop BB15_3 Depth=1
                                        ;     Parent Loop BB15_10 Depth=2
                                        ;       Parent Loop BB15_17 Depth=3
                                        ; =>      This Inner Loop Header: Depth=4
	v_or_b32_e32 v2, s46, v9
	v_cmp_ne_u64_e32 vcc, 0, v[1:2]
                                        ; implicit-def: $vgpr11_vgpr12
	s_and_saveexec_b64 s[6:7], vcc
	s_xor_b64 s[28:29], exec, s[6:7]
	s_cbranch_execz .LBB15_26
; %bb.25:                               ;   in Loop: Header=BB15_24 Depth=4
	s_ashr_i32 s30, s46, 31
	s_add_u32 s6, s48, s30
	s_mov_b32 s31, s30
	s_addc_u32 s7, s46, s30
	s_xor_b64 s[34:35], s[6:7], s[30:31]
	v_cvt_f32_u32_e32 v2, s34
	v_cvt_f32_u32_e32 v11, s35
	s_sub_u32 s15, 0, s34
	s_subb_u32 s31, 0, s35
	v_mac_f32_e32 v2, 0x4f800000, v11
	v_rcp_f32_e32 v2, v2
	v_mul_f32_e32 v2, 0x5f7ffffc, v2
	v_mul_f32_e32 v11, 0x2f800000, v2
	v_trunc_f32_e32 v11, v11
	v_mac_f32_e32 v2, 0xcf800000, v11
	v_cvt_u32_f32_e32 v11, v11
	v_cvt_u32_f32_e32 v2, v2
	v_readfirstlane_b32 s54, v11
	v_readfirstlane_b32 s6, v2
	s_mul_i32 s7, s15, s54
	s_mul_hi_u32 s56, s15, s6
	s_mul_i32 s55, s31, s6
	s_add_i32 s7, s56, s7
	s_add_i32 s7, s7, s55
	s_mul_i32 s57, s15, s6
	s_mul_i32 s56, s6, s7
	s_mul_hi_u32 s58, s6, s57
	s_mul_hi_u32 s55, s6, s7
	s_add_u32 s56, s58, s56
	s_addc_u32 s55, 0, s55
	s_mul_hi_u32 s59, s54, s57
	s_mul_i32 s57, s54, s57
	s_add_u32 s56, s56, s57
	s_mul_hi_u32 s58, s54, s7
	s_addc_u32 s55, s55, s59
	s_addc_u32 s56, s58, 0
	s_mul_i32 s7, s54, s7
	s_add_u32 s7, s55, s7
	s_addc_u32 s55, 0, s56
	s_add_u32 s56, s6, s7
	s_cselect_b64 s[6:7], -1, 0
	s_cmp_lg_u64 s[6:7], 0
	s_addc_u32 s54, s54, s55
	s_mul_i32 s6, s15, s54
	s_mul_hi_u32 s7, s15, s56
	s_add_i32 s6, s7, s6
	s_mul_i32 s31, s31, s56
	s_add_i32 s6, s6, s31
	s_mul_i32 s15, s15, s56
	s_mul_hi_u32 s31, s54, s15
	s_mul_i32 s55, s54, s15
	s_mul_i32 s58, s56, s6
	s_mul_hi_u32 s15, s56, s15
	s_mul_hi_u32 s57, s56, s6
	s_add_u32 s15, s15, s58
	s_addc_u32 s57, 0, s57
	s_add_u32 s15, s15, s55
	s_mul_hi_u32 s7, s54, s6
	s_addc_u32 s15, s57, s31
	s_addc_u32 s7, s7, 0
	s_mul_i32 s6, s54, s6
	s_add_u32 s6, s15, s6
	s_addc_u32 s15, 0, s7
	s_add_u32 s31, s56, s6
	s_cselect_b64 s[6:7], -1, 0
	v_ashrrev_i32_e32 v2, 31, v9
	s_cmp_lg_u64 s[6:7], 0
	v_add_co_u32_e32 v11, vcc, v8, v2
	s_addc_u32 s15, s54, s15
	v_xor_b32_e32 v29, v11, v2
	v_mad_u64_u32 v[11:12], s[6:7], v29, s15, 0
	v_mul_hi_u32 v28, v29, s31
	v_addc_co_u32_e32 v27, vcc, v9, v2, vcc
	v_xor_b32_e32 v30, v27, v2
	v_add_co_u32_e32 v31, vcc, v28, v11
	v_addc_co_u32_e32 v32, vcc, 0, v12, vcc
	v_mad_u64_u32 v[11:12], s[6:7], v30, s31, 0
	v_mad_u64_u32 v[27:28], s[6:7], v30, s15, 0
	v_add_co_u32_e32 v11, vcc, v31, v11
	v_addc_co_u32_e32 v11, vcc, v32, v12, vcc
	v_addc_co_u32_e32 v12, vcc, 0, v28, vcc
	v_add_co_u32_e32 v27, vcc, v11, v27
	v_addc_co_u32_e32 v11, vcc, 0, v12, vcc
	v_mul_lo_u32 v28, s35, v27
	v_mul_lo_u32 v31, s34, v11
	v_mad_u64_u32 v[11:12], s[6:7], s34, v27, 0
	v_xor_b32_e32 v2, s30, v2
	v_add3_u32 v12, v12, v31, v28
	v_sub_u32_e32 v28, v30, v12
	v_mov_b32_e32 v31, s35
	v_sub_co_u32_e32 v11, vcc, v29, v11
	v_subb_co_u32_e64 v28, s[6:7], v28, v31, vcc
	v_subrev_co_u32_e64 v29, s[6:7], s34, v11
	v_subbrev_co_u32_e64 v28, s[6:7], 0, v28, s[6:7]
	v_cmp_le_u32_e64 s[6:7], s35, v28
	v_subb_co_u32_e32 v12, vcc, v30, v12, vcc
	v_cndmask_b32_e64 v31, 0, -1, s[6:7]
	v_cmp_le_u32_e64 s[6:7], s34, v29
	v_cmp_le_u32_e32 vcc, s35, v12
	v_cndmask_b32_e64 v29, 0, -1, s[6:7]
	v_cmp_eq_u32_e64 s[6:7], s35, v28
	v_cndmask_b32_e64 v30, 0, -1, vcc
	v_cmp_le_u32_e32 vcc, s34, v11
	v_cndmask_b32_e64 v28, v31, v29, s[6:7]
	v_cndmask_b32_e64 v11, 0, -1, vcc
	v_cmp_eq_u32_e32 vcc, s35, v12
	v_add_co_u32_e64 v29, s[6:7], 2, v27
	v_add_co_u32_e64 v31, s[6:7], 1, v27
	v_cndmask_b32_e32 v11, v30, v11, vcc
	v_cmp_ne_u32_e32 vcc, 0, v28
	v_cndmask_b32_e32 v12, v31, v29, vcc
	v_cmp_ne_u32_e32 vcc, 0, v11
	v_cndmask_b32_e32 v11, v27, v12, vcc
	v_xor_b32_e32 v11, v11, v2
	v_sub_co_u32_e32 v11, vcc, v11, v2
.LBB15_26:                              ;   in Loop: Header=BB15_24 Depth=4
	s_andn2_saveexec_b64 s[6:7], s[28:29]
	s_cbranch_execz .LBB15_23
; %bb.27:                               ;   in Loop: Header=BB15_24 Depth=4
	v_cvt_f32_u32_e32 v2, s48
	s_sub_i32 s15, 0, s48
	v_rcp_iflag_f32_e32 v2, v2
	v_mul_f32_e32 v2, 0x4f7ffffe, v2
	v_cvt_u32_f32_e32 v2, v2
	v_mul_lo_u32 v11, s15, v2
	v_mul_hi_u32 v11, v2, v11
	v_add_u32_e32 v2, v2, v11
	v_mul_hi_u32 v2, v8, v2
	v_mul_lo_u32 v11, v2, s48
	v_add_u32_e32 v12, 1, v2
	v_sub_u32_e32 v11, v8, v11
	v_subrev_u32_e32 v27, s48, v11
	v_cmp_le_u32_e32 vcc, s48, v11
	v_cndmask_b32_e32 v11, v11, v27, vcc
	v_cndmask_b32_e32 v2, v2, v12, vcc
	v_add_u32_e32 v12, 1, v2
	v_cmp_le_u32_e32 vcc, s48, v11
	v_cndmask_b32_e32 v11, v2, v12, vcc
	s_branch .LBB15_23
.LBB15_28:
	s_endpgm
	.section	.rodata,"a",@progbits
	.p2align	6, 0x0
	.amdhsa_kernel _ZN2at6native12_GLOBAL__N_126adaptive_average_gradinputIfEEvPT_PKS3_iiii
		.amdhsa_group_segment_fixed_size 0
		.amdhsa_private_segment_fixed_size 0
		.amdhsa_kernarg_size 288
		.amdhsa_user_sgpr_count 6
		.amdhsa_user_sgpr_private_segment_buffer 1
		.amdhsa_user_sgpr_dispatch_ptr 0
		.amdhsa_user_sgpr_queue_ptr 0
		.amdhsa_user_sgpr_kernarg_segment_ptr 1
		.amdhsa_user_sgpr_dispatch_id 0
		.amdhsa_user_sgpr_flat_scratch_init 0
		.amdhsa_user_sgpr_private_segment_size 0
		.amdhsa_uses_dynamic_stack 0
		.amdhsa_system_sgpr_private_segment_wavefront_offset 0
		.amdhsa_system_sgpr_workgroup_id_x 1
		.amdhsa_system_sgpr_workgroup_id_y 1
		.amdhsa_system_sgpr_workgroup_id_z 0
		.amdhsa_system_sgpr_workgroup_info 0
		.amdhsa_system_vgpr_workitem_id 1
		.amdhsa_next_free_vgpr 36
		.amdhsa_next_free_sgpr 60
		.amdhsa_reserve_vcc 1
		.amdhsa_reserve_flat_scratch 0
		.amdhsa_float_round_mode_32 0
		.amdhsa_float_round_mode_16_64 0
		.amdhsa_float_denorm_mode_32 3
		.amdhsa_float_denorm_mode_16_64 3
		.amdhsa_dx10_clamp 1
		.amdhsa_ieee_mode 1
		.amdhsa_fp16_overflow 0
		.amdhsa_exception_fp_ieee_invalid_op 0
		.amdhsa_exception_fp_denorm_src 0
		.amdhsa_exception_fp_ieee_div_zero 0
		.amdhsa_exception_fp_ieee_overflow 0
		.amdhsa_exception_fp_ieee_underflow 0
		.amdhsa_exception_fp_ieee_inexact 0
		.amdhsa_exception_int_div_zero 0
	.end_amdhsa_kernel
	.section	.text._ZN2at6native12_GLOBAL__N_126adaptive_average_gradinputIfEEvPT_PKS3_iiii,"axG",@progbits,_ZN2at6native12_GLOBAL__N_126adaptive_average_gradinputIfEEvPT_PKS3_iiii,comdat
.Lfunc_end15:
	.size	_ZN2at6native12_GLOBAL__N_126adaptive_average_gradinputIfEEvPT_PKS3_iiii, .Lfunc_end15-_ZN2at6native12_GLOBAL__N_126adaptive_average_gradinputIfEEvPT_PKS3_iiii
                                        ; -- End function
	.set _ZN2at6native12_GLOBAL__N_126adaptive_average_gradinputIfEEvPT_PKS3_iiii.num_vgpr, 36
	.set _ZN2at6native12_GLOBAL__N_126adaptive_average_gradinputIfEEvPT_PKS3_iiii.num_agpr, 0
	.set _ZN2at6native12_GLOBAL__N_126adaptive_average_gradinputIfEEvPT_PKS3_iiii.numbered_sgpr, 60
	.set _ZN2at6native12_GLOBAL__N_126adaptive_average_gradinputIfEEvPT_PKS3_iiii.num_named_barrier, 0
	.set _ZN2at6native12_GLOBAL__N_126adaptive_average_gradinputIfEEvPT_PKS3_iiii.private_seg_size, 0
	.set _ZN2at6native12_GLOBAL__N_126adaptive_average_gradinputIfEEvPT_PKS3_iiii.uses_vcc, 1
	.set _ZN2at6native12_GLOBAL__N_126adaptive_average_gradinputIfEEvPT_PKS3_iiii.uses_flat_scratch, 0
	.set _ZN2at6native12_GLOBAL__N_126adaptive_average_gradinputIfEEvPT_PKS3_iiii.has_dyn_sized_stack, 0
	.set _ZN2at6native12_GLOBAL__N_126adaptive_average_gradinputIfEEvPT_PKS3_iiii.has_recursion, 0
	.set _ZN2at6native12_GLOBAL__N_126adaptive_average_gradinputIfEEvPT_PKS3_iiii.has_indirect_call, 0
	.section	.AMDGPU.csdata,"",@progbits
; Kernel info:
; codeLenInByte = 4448
; TotalNumSgprs: 64
; NumVgprs: 36
; ScratchSize: 0
; MemoryBound: 0
; FloatMode: 240
; IeeeMode: 1
; LDSByteSize: 0 bytes/workgroup (compile time only)
; SGPRBlocks: 7
; VGPRBlocks: 8
; NumSGPRsForWavesPerEU: 64
; NumVGPRsForWavesPerEU: 36
; Occupancy: 7
; WaveLimiterHint : 0
; COMPUTE_PGM_RSRC2:SCRATCH_EN: 0
; COMPUTE_PGM_RSRC2:USER_SGPR: 6
; COMPUTE_PGM_RSRC2:TRAP_HANDLER: 0
; COMPUTE_PGM_RSRC2:TGID_X_EN: 1
; COMPUTE_PGM_RSRC2:TGID_Y_EN: 1
; COMPUTE_PGM_RSRC2:TGID_Z_EN: 0
; COMPUTE_PGM_RSRC2:TIDIG_COMP_CNT: 1
	.section	.text._ZN2at6native12_GLOBAL__N_133atomic_adaptive_average_gradinputIN3c104HalfEEEvPT_PKS5_iiii,"axG",@progbits,_ZN2at6native12_GLOBAL__N_133atomic_adaptive_average_gradinputIN3c104HalfEEEvPT_PKS5_iiii,comdat
	.globl	_ZN2at6native12_GLOBAL__N_133atomic_adaptive_average_gradinputIN3c104HalfEEEvPT_PKS5_iiii ; -- Begin function _ZN2at6native12_GLOBAL__N_133atomic_adaptive_average_gradinputIN3c104HalfEEEvPT_PKS5_iiii
	.p2align	8
	.type	_ZN2at6native12_GLOBAL__N_133atomic_adaptive_average_gradinputIN3c104HalfEEEvPT_PKS5_iiii,@function
_ZN2at6native12_GLOBAL__N_133atomic_adaptive_average_gradinputIN3c104HalfEEEvPT_PKS5_iiii: ; @_ZN2at6native12_GLOBAL__N_133atomic_adaptive_average_gradinputIN3c104HalfEEEvPT_PKS5_iiii
; %bb.0:
	s_load_dword s2, s[4:5], 0x2c
	s_load_dwordx4 s[12:15], s[4:5], 0x10
	s_add_u32 s0, s4, 32
	s_addc_u32 s1, s5, 0
	s_waitcnt lgkmcnt(0)
	s_lshr_b32 s3, s2, 16
	s_mul_i32 s7, s7, s3
	v_add_u32_e32 v8, s7, v1
	v_cmp_gt_i32_e32 vcc, s14, v8
	s_and_saveexec_b64 s[8:9], vcc
	s_cbranch_execz .LBB16_26
; %bb.1:
	s_load_dwordx4 s[8:11], s[4:5], 0x0
	s_mul_i32 s4, s14, s6
	s_mul_i32 s4, s4, s15
	s_ashr_i32 s5, s4, 31
	s_lshl_b64 s[4:5], s[4:5], 1
	s_waitcnt lgkmcnt(0)
	s_add_u32 s33, s10, s4
	s_mul_i32 s4, s12, s6
	s_mul_i32 s4, s4, s13
	s_addc_u32 s38, s11, s5
	s_ashr_i32 s5, s4, 31
	s_load_dword s41, s[0:1], 0x4
	s_lshl_b64 s[0:1], s[4:5], 1
	s_add_u32 s39, s8, s0
	s_addc_u32 s40, s9, s1
	s_abs_i32 s45, s14
	v_cvt_f32_u32_e32 v1, s45
	s_abs_i32 s46, s15
	v_cvt_f32_u32_e32 v2, s46
	s_and_b32 s42, s2, 0xffff
	v_rcp_iflag_f32_e32 v1, v1
	s_sub_i32 s2, 0, s45
	v_rcp_iflag_f32_e32 v2, v2
	s_ashr_i32 s43, s14, 31
	v_mul_f32_e32 v1, 0x4f7ffffe, v1
	v_cvt_u32_f32_e32 v1, v1
	v_mul_f32_e32 v2, 0x4f7ffffe, v2
	v_cvt_u32_f32_e32 v3, v2
	s_waitcnt lgkmcnt(0)
	s_mul_i32 s41, s41, s3
	v_mul_lo_u32 v2, s2, v1
	s_sub_i32 s2, 0, s46
	v_mul_lo_u32 v4, s2, v3
	s_mov_b32 s44, s14
	v_mul_hi_u32 v2, v1, v2
	v_cmp_gt_i32_e64 s[0:1], s15, v0
	v_mul_hi_u32 v4, v3, v4
	s_ashr_i32 s11, s13, 31
	s_mov_b32 s10, s13
	s_ashr_i32 s47, s15, 31
	s_mov_b32 s48, s15
	s_mov_b32 s17, 0
	v_add_u32_e32 v9, v1, v2
	v_mov_b32_e32 v2, 0
	v_add_u32_e32 v10, v3, v4
	s_mov_b64 s[18:19], 0
	s_brev_b32 s49, -2
	s_mov_b32 s50, 0xffff0000
	s_ashr_i32 s20, s43, 31
	s_branch .LBB16_3
.LBB16_2:                               ;   in Loop: Header=BB16_3 Depth=1
	s_or_b64 exec, exec, s[22:23]
	v_add_u32_e32 v8, s41, v8
	v_cmp_le_i32_e32 vcc, s14, v8
	s_or_b64 s[18:19], vcc, s[18:19]
	s_andn2_b64 exec, exec, s[18:19]
	s_cbranch_execz .LBB16_26
.LBB16_3:                               ; =>This Loop Header: Depth=1
                                        ;     Child Loop BB16_10 Depth 2
                                        ;       Child Loop BB16_17 Depth 3
                                        ;         Child Loop BB16_20 Depth 4
                                        ;           Child Loop BB16_22 Depth 5
	v_add_u32_e32 v1, 1, v8
	v_mad_i64_i32 v[3:4], s[2:3], v1, s12, -1
	v_mov_b32_e32 v5, v2
	v_or_b32_e32 v6, s43, v4
	v_cmp_ne_u64_e32 vcc, 0, v[5:6]
                                        ; implicit-def: $vgpr5_vgpr6
	s_and_saveexec_b64 s[2:3], vcc
	s_xor_b64 s[4:5], exec, s[2:3]
	s_cbranch_execnz .LBB16_6
; %bb.4:                                ;   in Loop: Header=BB16_3 Depth=1
	s_andn2_saveexec_b64 s[2:3], s[4:5]
	s_cbranch_execnz .LBB16_7
.LBB16_5:                               ;   in Loop: Header=BB16_3 Depth=1
	s_or_b64 exec, exec, s[2:3]
	s_and_saveexec_b64 s[22:23], s[0:1]
	s_cbranch_execz .LBB16_2
	s_branch .LBB16_8
.LBB16_6:                               ;   in Loop: Header=BB16_3 Depth=1
	s_add_u32 s2, s44, s20
	s_mov_b32 s21, s20
	s_addc_u32 s3, s43, s20
	s_xor_b64 s[6:7], s[2:3], s[20:21]
	v_cvt_f32_u32_e32 v1, s6
	v_cvt_f32_u32_e32 v5, s7
	s_sub_u32 s8, 0, s6
	s_subb_u32 s9, 0, s7
	v_mac_f32_e32 v1, 0x4f800000, v5
	v_rcp_f32_e32 v1, v1
	v_mul_f32_e32 v1, 0x5f7ffffc, v1
	v_mul_f32_e32 v5, 0x2f800000, v1
	v_trunc_f32_e32 v5, v5
	v_mac_f32_e32 v1, 0xcf800000, v5
	v_cvt_u32_f32_e32 v5, v5
	v_cvt_u32_f32_e32 v1, v1
	v_readfirstlane_b32 s16, v5
	v_readfirstlane_b32 s2, v1
	s_mul_i32 s3, s8, s16
	s_mul_hi_u32 s22, s8, s2
	s_mul_i32 s21, s9, s2
	s_add_i32 s3, s22, s3
	s_add_i32 s3, s3, s21
	s_mul_i32 s23, s8, s2
	s_mul_i32 s22, s2, s3
	s_mul_hi_u32 s24, s2, s23
	s_mul_hi_u32 s21, s2, s3
	s_add_u32 s22, s24, s22
	s_addc_u32 s21, 0, s21
	s_mul_hi_u32 s25, s16, s23
	s_mul_i32 s23, s16, s23
	s_add_u32 s22, s22, s23
	s_mul_hi_u32 s24, s16, s3
	s_addc_u32 s21, s21, s25
	s_addc_u32 s22, s24, 0
	s_mul_i32 s3, s16, s3
	s_add_u32 s3, s21, s3
	s_addc_u32 s21, 0, s22
	s_add_u32 s22, s2, s3
	s_cselect_b64 s[2:3], -1, 0
	s_cmp_lg_u64 s[2:3], 0
	s_addc_u32 s16, s16, s21
	s_mul_i32 s2, s8, s16
	s_mul_hi_u32 s3, s8, s22
	s_add_i32 s2, s3, s2
	s_mul_i32 s9, s9, s22
	s_add_i32 s2, s2, s9
	s_mul_i32 s8, s8, s22
	s_mul_hi_u32 s9, s16, s8
	s_mul_i32 s21, s16, s8
	s_mul_i32 s24, s22, s2
	s_mul_hi_u32 s8, s22, s8
	s_mul_hi_u32 s23, s22, s2
	s_add_u32 s8, s8, s24
	s_addc_u32 s23, 0, s23
	s_add_u32 s8, s8, s21
	s_mul_hi_u32 s3, s16, s2
	s_addc_u32 s8, s23, s9
	s_addc_u32 s3, s3, 0
	s_mul_i32 s2, s16, s2
	s_add_u32 s2, s8, s2
	s_addc_u32 s8, 0, s3
	s_add_u32 s9, s22, s2
	s_cselect_b64 s[2:3], -1, 0
	v_ashrrev_i32_e32 v1, 31, v4
	s_cmp_lg_u64 s[2:3], 0
	v_add_co_u32_e32 v3, vcc, v3, v1
	s_addc_u32 s8, s16, s8
	v_xor_b32_e32 v7, v3, v1
	v_addc_co_u32_e32 v5, vcc, v4, v1, vcc
	v_mad_u64_u32 v[3:4], s[2:3], v7, s8, 0
	v_mul_hi_u32 v6, v7, s9
	v_xor_b32_e32 v11, v5, v1
	v_xor_b32_e32 v1, s20, v1
	v_add_co_u32_e32 v12, vcc, v6, v3
	v_addc_co_u32_e32 v13, vcc, 0, v4, vcc
	v_mad_u64_u32 v[3:4], s[2:3], v11, s9, 0
	v_mad_u64_u32 v[5:6], s[2:3], v11, s8, 0
	v_add_co_u32_e32 v3, vcc, v12, v3
	v_addc_co_u32_e32 v3, vcc, v13, v4, vcc
	v_addc_co_u32_e32 v4, vcc, 0, v6, vcc
	v_add_co_u32_e32 v5, vcc, v3, v5
	v_addc_co_u32_e32 v3, vcc, 0, v4, vcc
	v_mul_lo_u32 v6, s7, v5
	v_mul_lo_u32 v12, s6, v3
	v_mad_u64_u32 v[3:4], s[2:3], s6, v5, 0
	v_add3_u32 v4, v4, v12, v6
	v_sub_u32_e32 v6, v11, v4
	v_mov_b32_e32 v12, s7
	v_sub_co_u32_e32 v3, vcc, v7, v3
	v_subb_co_u32_e64 v6, s[2:3], v6, v12, vcc
	v_subrev_co_u32_e64 v7, s[2:3], s6, v3
	v_subbrev_co_u32_e64 v6, s[2:3], 0, v6, s[2:3]
	v_cmp_le_u32_e64 s[2:3], s7, v6
	v_subb_co_u32_e32 v4, vcc, v11, v4, vcc
	v_cndmask_b32_e64 v12, 0, -1, s[2:3]
	v_cmp_le_u32_e64 s[2:3], s6, v7
	v_cmp_le_u32_e32 vcc, s7, v4
	v_cndmask_b32_e64 v7, 0, -1, s[2:3]
	v_cmp_eq_u32_e64 s[2:3], s7, v6
	v_cndmask_b32_e64 v11, 0, -1, vcc
	v_cmp_le_u32_e32 vcc, s6, v3
	v_cndmask_b32_e64 v6, v12, v7, s[2:3]
	v_cndmask_b32_e64 v3, 0, -1, vcc
	v_cmp_eq_u32_e32 vcc, s7, v4
	v_add_co_u32_e64 v7, s[2:3], 2, v5
	v_add_co_u32_e64 v12, s[2:3], 1, v5
	v_cndmask_b32_e32 v3, v11, v3, vcc
	v_cmp_ne_u32_e32 vcc, 0, v6
	v_cndmask_b32_e32 v4, v12, v7, vcc
	v_cmp_ne_u32_e32 vcc, 0, v3
	v_cndmask_b32_e32 v3, v5, v4, vcc
	v_xor_b32_e32 v3, v3, v1
	v_sub_co_u32_e32 v5, vcc, v3, v1
                                        ; implicit-def: $vgpr3_vgpr4
	s_andn2_saveexec_b64 s[2:3], s[4:5]
	s_cbranch_execz .LBB16_5
.LBB16_7:                               ;   in Loop: Header=BB16_3 Depth=1
	v_cvt_f32_u32_e32 v1, s44
	s_sub_i32 s4, 0, s44
	v_rcp_iflag_f32_e32 v1, v1
	v_mul_f32_e32 v1, 0x4f7ffffe, v1
	v_cvt_u32_f32_e32 v1, v1
	v_mul_lo_u32 v4, s4, v1
	v_mul_hi_u32 v4, v1, v4
	v_add_u32_e32 v1, v1, v4
	v_mul_hi_u32 v1, v3, v1
	v_mul_lo_u32 v4, v1, s44
	v_add_u32_e32 v5, 1, v1
	v_sub_u32_e32 v3, v3, v4
	v_subrev_u32_e32 v4, s44, v3
	v_cmp_le_u32_e32 vcc, s44, v3
	v_cndmask_b32_e32 v3, v3, v4, vcc
	v_cndmask_b32_e32 v1, v1, v5, vcc
	v_add_u32_e32 v4, 1, v1
	v_cmp_le_u32_e32 vcc, s44, v3
	v_cndmask_b32_e32 v5, v1, v4, vcc
	s_or_b64 exec, exec, s[2:3]
	s_and_saveexec_b64 s[22:23], s[0:1]
	s_cbranch_execz .LBB16_2
.LBB16_8:                               ;   in Loop: Header=BB16_3 Depth=1
	v_sub_u32_e32 v1, 0, v8
	v_max_i32_e32 v1, v8, v1
	v_mul_hi_u32 v3, v1, v9
	v_ashrrev_i32_e32 v6, 31, v8
	v_xor_b32_e32 v6, s43, v6
	s_mov_b64 s[24:25], 0
	v_mul_lo_u32 v4, v3, s45
	v_add_u32_e32 v7, 1, v3
	v_sub_u32_e32 v1, v1, v4
	v_cmp_le_u32_e32 vcc, s45, v1
	v_subrev_u32_e32 v4, s45, v1
	v_cndmask_b32_e32 v3, v3, v7, vcc
	v_cndmask_b32_e32 v1, v1, v4, vcc
	v_add_u32_e32 v4, 1, v3
	v_cmp_le_u32_e32 vcc, s45, v1
	v_cndmask_b32_e32 v1, v3, v4, vcc
	v_xor_b32_e32 v1, v1, v6
	v_sub_u32_e32 v4, v1, v6
	v_mul_lo_u32 v1, v4, s14
	v_sub_u32_e32 v1, v8, v1
	v_mul_lo_u32 v1, v1, s12
	v_sub_u32_e32 v3, 0, v1
	v_max_i32_e32 v6, v1, v3
	v_mul_hi_u32 v7, v6, v9
	v_ashrrev_i32_e32 v1, 31, v1
	v_xor_b32_e32 v1, s43, v1
	v_mul_lo_u32 v3, v8, s15
	v_mul_lo_u32 v11, v7, s45
	v_add_u32_e32 v12, 1, v7
	v_sub_u32_e32 v6, v6, v11
	v_cmp_le_u32_e32 vcc, s45, v6
	v_subrev_u32_e32 v11, s45, v6
	v_cndmask_b32_e32 v7, v7, v12, vcc
	v_cndmask_b32_e32 v6, v6, v11, vcc
	v_add_u32_e32 v11, 1, v7
	v_cmp_le_u32_e32 vcc, s45, v6
	v_cndmask_b32_e32 v6, v7, v11, vcc
	v_xor_b32_e32 v6, v6, v1
	v_sub_u32_e32 v1, v6, v1
	v_mad_u64_u32 v[6:7], s[2:3], v4, s12, v[1:2]
	v_mov_b32_e32 v1, s40
	v_ashrrev_i32_e32 v4, 31, v3
	v_mul_lo_u32 v12, v6, s13
	v_sub_u32_e32 v11, v5, v6
	v_add_u32_e32 v14, 1, v11
	v_lshlrev_b64 v[3:4], 1, v[3:4]
	v_ashrrev_i32_e32 v13, 31, v12
	v_lshlrev_b64 v[5:6], 1, v[12:13]
	v_mov_b32_e32 v7, s38
	v_add_co_u32_e32 v12, vcc, s39, v5
	v_addc_co_u32_e32 v13, vcc, v1, v6, vcc
	v_cvt_f32_i32_e32 v1, v14
	v_add_co_u32_e32 v14, vcc, s33, v3
	v_addc_co_u32_e32 v15, vcc, v7, v4, vcc
	v_cvt_f16_f32_e32 v16, v1
	v_cmp_gt_u32_e64 s[2:3], s49, v11
	v_mov_b32_e32 v3, v0
	s_branch .LBB16_10
.LBB16_9:                               ;   in Loop: Header=BB16_10 Depth=2
	s_or_b64 exec, exec, s[26:27]
	v_add_u32_e32 v3, s42, v3
	v_cmp_le_i32_e32 vcc, s15, v3
	s_or_b64 s[24:25], vcc, s[24:25]
	s_andn2_b64 exec, exec, s[24:25]
	s_cbranch_execz .LBB16_2
.LBB16_10:                              ;   Parent Loop BB16_3 Depth=1
                                        ; =>  This Loop Header: Depth=2
                                        ;       Child Loop BB16_17 Depth 3
                                        ;         Child Loop BB16_20 Depth 4
                                        ;           Child Loop BB16_22 Depth 5
	v_add_u32_e32 v6, 1, v3
	v_mad_u64_u32 v[4:5], s[4:5], v6, s10, -1
	v_mov_b32_e32 v1, v5
	v_mad_u64_u32 v[5:6], s[4:5], v6, s11, v[1:2]
	v_mov_b32_e32 v6, v2
	v_or_b32_e32 v7, s47, v5
	v_cmp_ne_u64_e32 vcc, 0, v[6:7]
	v_mov_b32_e32 v1, v5
                                        ; implicit-def: $vgpr6_vgpr7
	s_and_saveexec_b64 s[4:5], vcc
	s_xor_b64 s[6:7], exec, s[4:5]
	s_cbranch_execnz .LBB16_13
; %bb.11:                               ;   in Loop: Header=BB16_10 Depth=2
	s_andn2_saveexec_b64 s[4:5], s[6:7]
	s_cbranch_execnz .LBB16_14
.LBB16_12:                              ;   in Loop: Header=BB16_10 Depth=2
	s_or_b64 exec, exec, s[4:5]
	v_mov_b32_e32 v4, v2
	s_and_saveexec_b64 s[26:27], s[2:3]
	s_cbranch_execz .LBB16_9
	s_branch .LBB16_15
.LBB16_13:                              ;   in Loop: Header=BB16_10 Depth=2
	s_ashr_i32 s8, s47, 31
	s_add_u32 s4, s48, s8
	s_mov_b32 s9, s8
	s_addc_u32 s5, s47, s8
	s_xor_b64 s[26:27], s[4:5], s[8:9]
	v_cvt_f32_u32_e32 v5, s26
	v_cvt_f32_u32_e32 v6, s27
	s_sub_u32 s9, 0, s26
	s_subb_u32 s16, 0, s27
	v_ashrrev_i32_e32 v17, 31, v1
	v_mac_f32_e32 v5, 0x4f800000, v6
	v_rcp_f32_e32 v5, v5
	v_add_co_u32_e32 v4, vcc, v4, v17
	v_xor_b32_e32 v18, v4, v17
	v_mul_f32_e32 v5, 0x5f7ffffc, v5
	v_mul_f32_e32 v6, 0x2f800000, v5
	v_trunc_f32_e32 v6, v6
	v_mac_f32_e32 v5, 0xcf800000, v6
	v_cvt_u32_f32_e32 v6, v6
	v_cvt_u32_f32_e32 v5, v5
	v_addc_co_u32_e32 v1, vcc, v1, v17, vcc
	v_readfirstlane_b32 s21, v6
	v_readfirstlane_b32 s4, v5
	s_mul_i32 s5, s9, s21
	s_mul_hi_u32 s29, s9, s4
	s_mul_i32 s28, s16, s4
	s_add_i32 s5, s29, s5
	s_add_i32 s5, s5, s28
	s_mul_i32 s30, s9, s4
	s_mul_i32 s29, s4, s5
	s_mul_hi_u32 s31, s4, s30
	s_mul_hi_u32 s28, s4, s5
	s_add_u32 s29, s31, s29
	s_addc_u32 s28, 0, s28
	s_mul_hi_u32 s34, s21, s30
	s_mul_i32 s30, s21, s30
	s_add_u32 s29, s29, s30
	s_mul_hi_u32 s31, s21, s5
	s_addc_u32 s28, s28, s34
	s_addc_u32 s29, s31, 0
	s_mul_i32 s5, s21, s5
	s_add_u32 s5, s28, s5
	s_addc_u32 s28, 0, s29
	s_add_u32 s29, s4, s5
	s_cselect_b64 s[4:5], -1, 0
	s_cmp_lg_u64 s[4:5], 0
	s_addc_u32 s21, s21, s28
	s_mul_i32 s4, s9, s21
	s_mul_hi_u32 s5, s9, s29
	s_add_i32 s4, s5, s4
	s_mul_i32 s16, s16, s29
	s_add_i32 s4, s4, s16
	s_mul_i32 s9, s9, s29
	s_mul_hi_u32 s16, s21, s9
	s_mul_i32 s28, s21, s9
	s_mul_i32 s31, s29, s4
	s_mul_hi_u32 s9, s29, s9
	s_mul_hi_u32 s30, s29, s4
	s_add_u32 s9, s9, s31
	s_addc_u32 s30, 0, s30
	s_add_u32 s9, s9, s28
	s_mul_hi_u32 s5, s21, s4
	s_addc_u32 s9, s30, s16
	s_addc_u32 s5, s5, 0
	s_mul_i32 s4, s21, s4
	s_add_u32 s4, s9, s4
	s_addc_u32 s9, 0, s5
	s_add_u32 s16, s29, s4
	s_cselect_b64 s[4:5], -1, 0
	s_cmp_lg_u64 s[4:5], 0
	s_addc_u32 s9, s21, s9
	v_mad_u64_u32 v[4:5], s[4:5], v18, s9, 0
	v_mul_hi_u32 v6, v18, s16
	v_xor_b32_e32 v1, v1, v17
	v_add_co_u32_e32 v19, vcc, v6, v4
	v_addc_co_u32_e32 v20, vcc, 0, v5, vcc
	v_mad_u64_u32 v[4:5], s[4:5], v1, s16, 0
	v_mad_u64_u32 v[6:7], s[4:5], v1, s9, 0
	v_add_co_u32_e32 v4, vcc, v19, v4
	v_addc_co_u32_e32 v4, vcc, v20, v5, vcc
	v_addc_co_u32_e32 v5, vcc, 0, v7, vcc
	v_add_co_u32_e32 v6, vcc, v4, v6
	v_addc_co_u32_e32 v4, vcc, 0, v5, vcc
	v_mul_lo_u32 v7, s27, v6
	v_mul_lo_u32 v19, s26, v4
	v_mad_u64_u32 v[4:5], s[4:5], s26, v6, 0
	v_add3_u32 v5, v5, v19, v7
	v_sub_u32_e32 v7, v1, v5
	v_mov_b32_e32 v19, s27
	v_sub_co_u32_e32 v4, vcc, v18, v4
	v_subb_co_u32_e64 v7, s[4:5], v7, v19, vcc
	v_subrev_co_u32_e64 v18, s[4:5], s26, v4
	v_subbrev_co_u32_e64 v7, s[4:5], 0, v7, s[4:5]
	v_cmp_le_u32_e64 s[4:5], s27, v7
	v_subb_co_u32_e32 v1, vcc, v1, v5, vcc
	v_cndmask_b32_e64 v19, 0, -1, s[4:5]
	v_cmp_le_u32_e64 s[4:5], s26, v18
	v_cmp_le_u32_e32 vcc, s27, v1
	v_cndmask_b32_e64 v18, 0, -1, s[4:5]
	v_cmp_eq_u32_e64 s[4:5], s27, v7
	v_cndmask_b32_e64 v5, 0, -1, vcc
	v_cmp_le_u32_e32 vcc, s26, v4
	v_cndmask_b32_e64 v7, v19, v18, s[4:5]
	v_cndmask_b32_e64 v4, 0, -1, vcc
	v_cmp_eq_u32_e32 vcc, s27, v1
	v_add_co_u32_e64 v18, s[4:5], 2, v6
	v_add_co_u32_e64 v19, s[4:5], 1, v6
	v_cndmask_b32_e32 v1, v5, v4, vcc
	v_cmp_ne_u32_e32 vcc, 0, v7
	v_cndmask_b32_e32 v4, v19, v18, vcc
	v_cmp_ne_u32_e32 vcc, 0, v1
	v_cndmask_b32_e32 v1, v6, v4, vcc
	v_xor_b32_e32 v4, s8, v17
	v_xor_b32_e32 v1, v1, v4
	v_sub_co_u32_e32 v6, vcc, v1, v4
                                        ; implicit-def: $vgpr4_vgpr5
	s_andn2_saveexec_b64 s[4:5], s[6:7]
	s_cbranch_execz .LBB16_12
.LBB16_14:                              ;   in Loop: Header=BB16_10 Depth=2
	v_cvt_f32_u32_e32 v1, s48
	s_sub_i32 s6, 0, s48
	v_rcp_iflag_f32_e32 v1, v1
	v_mul_f32_e32 v1, 0x4f7ffffe, v1
	v_cvt_u32_f32_e32 v1, v1
	v_mul_lo_u32 v5, s6, v1
	v_mul_hi_u32 v5, v1, v5
	v_add_u32_e32 v1, v1, v5
	v_mul_hi_u32 v1, v4, v1
	v_mul_lo_u32 v5, v1, s48
	v_add_u32_e32 v6, 1, v1
	v_sub_u32_e32 v4, v4, v5
	v_subrev_u32_e32 v5, s48, v4
	v_cmp_le_u32_e32 vcc, s48, v4
	v_cndmask_b32_e32 v4, v4, v5, vcc
	v_cndmask_b32_e32 v1, v1, v6, vcc
	v_add_u32_e32 v5, 1, v1
	v_cmp_le_u32_e32 vcc, s48, v4
	v_cndmask_b32_e32 v6, v1, v5, vcc
	s_or_b64 exec, exec, s[4:5]
	v_mov_b32_e32 v4, v2
	s_and_saveexec_b64 s[26:27], s[2:3]
	s_cbranch_execz .LBB16_9
.LBB16_15:                              ;   in Loop: Header=BB16_10 Depth=2
	v_lshlrev_b64 v[4:5], 1, v[3:4]
	v_mul_hi_u32 v1, v3, v10
	v_add_co_u32_e32 v4, vcc, v14, v4
	v_addc_co_u32_e32 v5, vcc, v15, v5, vcc
	global_load_ushort v7, v[4:5], off
	v_mul_lo_u32 v4, v3, s13
	v_mul_lo_u32 v5, v1, s46
	v_add_u32_e32 v17, 1, v1
	s_mov_b32 s21, 0
	v_sub_u32_e32 v19, 0, v4
	v_ashrrev_i32_e32 v18, 31, v4
	v_max_i32_e32 v4, v4, v19
	v_mul_hi_u32 v19, v4, v10
	v_sub_u32_e32 v5, v3, v5
	v_cmp_le_u32_e32 vcc, s46, v5
	v_cndmask_b32_e32 v1, v1, v17, vcc
	v_subrev_u32_e32 v17, s46, v5
	v_cndmask_b32_e32 v5, v5, v17, vcc
	v_mul_lo_u32 v20, v19, s46
	v_add_u32_e32 v17, 1, v1
	v_cmp_le_u32_e32 vcc, s46, v5
	v_cndmask_b32_e32 v1, v1, v17, vcc
	v_xor_b32_e32 v1, s47, v1
	v_subrev_u32_e32 v5, s47, v1
	v_sub_u32_e32 v1, v4, v20
	v_add_u32_e32 v21, 1, v19
	v_cmp_le_u32_e32 vcc, s46, v1
	v_subrev_u32_e32 v17, s46, v1
	v_cndmask_b32_e32 v4, v19, v21, vcc
	v_cndmask_b32_e32 v1, v1, v17, vcc
	v_add_u32_e32 v17, 1, v4
	v_cmp_le_u32_e32 vcc, s46, v1
	v_xor_b32_e32 v18, s47, v18
	v_cndmask_b32_e32 v1, v4, v17, vcc
	v_xor_b32_e32 v1, v1, v18
	v_sub_u32_e32 v1, v1, v18
	v_mad_u64_u32 v[4:5], s[4:5], v5, s13, v[1:2]
	v_cvt_f32_f16_e32 v19, v16
	s_mov_b64 s[28:29], 0
	v_sub_u32_e32 v17, v6, v4
	v_add_u32_e32 v1, 1, v17
	v_cvt_f32_i32_e32 v1, v1
	v_cmp_gt_u32_e64 s[4:5], s49, v17
	v_cvt_f16_f32_e32 v1, v1
	v_cvt_f32_f16_e32 v5, v1
	v_rcp_f32_e32 v6, v5
	s_waitcnt vmcnt(0)
	v_cvt_f32_f16_e32 v18, v7
	v_mul_f32_e32 v20, v18, v6
	v_mad_f32 v21, -v5, v20, v18
	v_mac_f32_e32 v20, v21, v6
	v_mad_f32 v5, -v5, v20, v18
	v_mul_f32_e32 v5, v5, v6
	v_and_b32_e32 v5, 0xff800000, v5
	v_add_f32_e32 v5, v5, v20
	v_cvt_f16_f32_e32 v5, v5
	v_rcp_f32_e32 v6, v19
	v_div_fixup_f16 v1, v5, v1, v7
	v_cvt_f32_f16_e32 v7, v1
	v_ashrrev_i32_e32 v5, 31, v4
	v_lshlrev_b64 v[4:5], 1, v[4:5]
	v_mul_f32_e32 v18, v7, v6
	v_mad_f32 v20, -v19, v18, v7
	v_mac_f32_e32 v18, v20, v6
	v_mad_f32 v7, -v19, v18, v7
	v_mul_f32_e32 v6, v7, v6
	v_and_b32_e32 v6, 0xff800000, v6
	v_add_f32_e32 v6, v6, v18
	v_cvt_f16_f32_e32 v6, v6
	v_add_co_u32_e32 v18, vcc, v12, v4
	v_addc_co_u32_e32 v19, vcc, v13, v5, vcc
	v_div_fixup_f16 v20, v6, v16, v1
	s_branch .LBB16_17
.LBB16_16:                              ;   in Loop: Header=BB16_17 Depth=3
	s_or_b64 exec, exec, s[30:31]
	s_lshl_b64 s[6:7], s[10:11], 1
	v_mov_b32_e32 v1, s7
	v_add_co_u32_e32 v18, vcc, s6, v18
	v_addc_co_u32_e32 v19, vcc, v19, v1, vcc
	s_add_i32 s6, s21, 1
	v_cmp_eq_u32_e32 vcc, s21, v11
	s_or_b64 s[28:29], vcc, s[28:29]
	s_mov_b32 s21, s6
	s_andn2_b64 exec, exec, s[28:29]
	s_cbranch_execz .LBB16_9
.LBB16_17:                              ;   Parent Loop BB16_3 Depth=1
                                        ;     Parent Loop BB16_10 Depth=2
                                        ; =>    This Loop Header: Depth=3
                                        ;         Child Loop BB16_20 Depth 4
                                        ;           Child Loop BB16_22 Depth 5
	s_and_saveexec_b64 s[30:31], s[4:5]
	s_cbranch_execz .LBB16_16
; %bb.18:                               ;   in Loop: Header=BB16_17 Depth=3
	s_mov_b32 s16, 0
	s_mov_b64 s[34:35], 0
	s_branch .LBB16_20
.LBB16_19:                              ;   in Loop: Header=BB16_20 Depth=4
	s_or_b64 exec, exec, s[36:37]
	s_add_i32 s6, s16, 1
	v_cmp_eq_u32_e32 vcc, s16, v17
	s_or_b64 s[34:35], vcc, s[34:35]
	s_mov_b32 s16, s6
	s_andn2_b64 exec, exec, s[34:35]
	s_cbranch_execz .LBB16_16
.LBB16_20:                              ;   Parent Loop BB16_3 Depth=1
                                        ;     Parent Loop BB16_10 Depth=2
                                        ;       Parent Loop BB16_17 Depth=3
                                        ; =>      This Loop Header: Depth=4
                                        ;           Child Loop BB16_22 Depth 5
	s_lshl_b64 s[6:7], s[16:17], 1
	v_mov_b32_e32 v1, s7
	v_add_co_u32_e32 v4, vcc, s6, v18
	v_addc_co_u32_e32 v5, vcc, v19, v1, vcc
	v_and_b32_e32 v1, 2, v4
	v_sub_co_u32_e32 v6, vcc, 0, v1
	v_subb_co_u32_e64 v7, s[6:7], 0, 0, vcc
	v_add_co_u32_e32 v4, vcc, v4, v6
	v_addc_co_u32_e32 v5, vcc, v5, v7, vcc
	global_load_dword v7, v[4:5], off
	v_cmp_eq_u64_e32 vcc, 0, v[1:2]
	v_cmp_ne_u32_e64 s[6:7], 0, v1
	s_mov_b64 s[36:37], 0
	s_branch .LBB16_22
.LBB16_21:                              ;   in Loop: Header=BB16_22 Depth=5
	s_or_b64 exec, exec, s[8:9]
	global_atomic_cmpswap v1, v[4:5], v[6:7], off glc
	s_waitcnt vmcnt(0)
	v_cmp_eq_u32_e64 s[8:9], v7, v1
	s_or_b64 s[36:37], s[8:9], s[36:37]
	v_mov_b32_e32 v7, v1
	s_andn2_b64 exec, exec, s[36:37]
	s_cbranch_execz .LBB16_19
.LBB16_22:                              ;   Parent Loop BB16_3 Depth=1
                                        ;     Parent Loop BB16_10 Depth=2
                                        ;       Parent Loop BB16_17 Depth=3
                                        ;         Parent Loop BB16_20 Depth=4
                                        ; =>        This Inner Loop Header: Depth=5
	s_waitcnt vmcnt(0)
	v_cndmask_b32_sdwa v1, v7, v7, vcc dst_sel:DWORD dst_unused:UNUSED_PAD src0_sel:WORD_1 src1_sel:DWORD
	v_add_f16_e32 v1, v20, v1
	s_and_saveexec_b64 s[8:9], s[6:7]
	s_xor_b64 s[8:9], exec, s[8:9]
; %bb.23:                               ;   in Loop: Header=BB16_22 Depth=5
	v_and_b32_e32 v6, 0xffff, v7
	v_lshl_or_b32 v6, v1, 16, v6
                                        ; implicit-def: $vgpr1
; %bb.24:                               ;   in Loop: Header=BB16_22 Depth=5
	s_andn2_saveexec_b64 s[8:9], s[8:9]
	s_cbranch_execz .LBB16_21
; %bb.25:                               ;   in Loop: Header=BB16_22 Depth=5
	v_and_or_b32 v6, v7, s50, v1
	s_branch .LBB16_21
.LBB16_26:
	s_endpgm
	.section	.rodata,"a",@progbits
	.p2align	6, 0x0
	.amdhsa_kernel _ZN2at6native12_GLOBAL__N_133atomic_adaptive_average_gradinputIN3c104HalfEEEvPT_PKS5_iiii
		.amdhsa_group_segment_fixed_size 0
		.amdhsa_private_segment_fixed_size 0
		.amdhsa_kernarg_size 288
		.amdhsa_user_sgpr_count 6
		.amdhsa_user_sgpr_private_segment_buffer 1
		.amdhsa_user_sgpr_dispatch_ptr 0
		.amdhsa_user_sgpr_queue_ptr 0
		.amdhsa_user_sgpr_kernarg_segment_ptr 1
		.amdhsa_user_sgpr_dispatch_id 0
		.amdhsa_user_sgpr_flat_scratch_init 0
		.amdhsa_user_sgpr_private_segment_size 0
		.amdhsa_uses_dynamic_stack 0
		.amdhsa_system_sgpr_private_segment_wavefront_offset 0
		.amdhsa_system_sgpr_workgroup_id_x 1
		.amdhsa_system_sgpr_workgroup_id_y 1
		.amdhsa_system_sgpr_workgroup_id_z 0
		.amdhsa_system_sgpr_workgroup_info 0
		.amdhsa_system_vgpr_workitem_id 1
		.amdhsa_next_free_vgpr 22
		.amdhsa_next_free_sgpr 51
		.amdhsa_reserve_vcc 1
		.amdhsa_reserve_flat_scratch 0
		.amdhsa_float_round_mode_32 0
		.amdhsa_float_round_mode_16_64 0
		.amdhsa_float_denorm_mode_32 3
		.amdhsa_float_denorm_mode_16_64 3
		.amdhsa_dx10_clamp 1
		.amdhsa_ieee_mode 1
		.amdhsa_fp16_overflow 0
		.amdhsa_exception_fp_ieee_invalid_op 0
		.amdhsa_exception_fp_denorm_src 0
		.amdhsa_exception_fp_ieee_div_zero 0
		.amdhsa_exception_fp_ieee_overflow 0
		.amdhsa_exception_fp_ieee_underflow 0
		.amdhsa_exception_fp_ieee_inexact 0
		.amdhsa_exception_int_div_zero 0
	.end_amdhsa_kernel
	.section	.text._ZN2at6native12_GLOBAL__N_133atomic_adaptive_average_gradinputIN3c104HalfEEEvPT_PKS5_iiii,"axG",@progbits,_ZN2at6native12_GLOBAL__N_133atomic_adaptive_average_gradinputIN3c104HalfEEEvPT_PKS5_iiii,comdat
.Lfunc_end16:
	.size	_ZN2at6native12_GLOBAL__N_133atomic_adaptive_average_gradinputIN3c104HalfEEEvPT_PKS5_iiii, .Lfunc_end16-_ZN2at6native12_GLOBAL__N_133atomic_adaptive_average_gradinputIN3c104HalfEEEvPT_PKS5_iiii
                                        ; -- End function
	.set _ZN2at6native12_GLOBAL__N_133atomic_adaptive_average_gradinputIN3c104HalfEEEvPT_PKS5_iiii.num_vgpr, 22
	.set _ZN2at6native12_GLOBAL__N_133atomic_adaptive_average_gradinputIN3c104HalfEEEvPT_PKS5_iiii.num_agpr, 0
	.set _ZN2at6native12_GLOBAL__N_133atomic_adaptive_average_gradinputIN3c104HalfEEEvPT_PKS5_iiii.numbered_sgpr, 51
	.set _ZN2at6native12_GLOBAL__N_133atomic_adaptive_average_gradinputIN3c104HalfEEEvPT_PKS5_iiii.num_named_barrier, 0
	.set _ZN2at6native12_GLOBAL__N_133atomic_adaptive_average_gradinputIN3c104HalfEEEvPT_PKS5_iiii.private_seg_size, 0
	.set _ZN2at6native12_GLOBAL__N_133atomic_adaptive_average_gradinputIN3c104HalfEEEvPT_PKS5_iiii.uses_vcc, 1
	.set _ZN2at6native12_GLOBAL__N_133atomic_adaptive_average_gradinputIN3c104HalfEEEvPT_PKS5_iiii.uses_flat_scratch, 0
	.set _ZN2at6native12_GLOBAL__N_133atomic_adaptive_average_gradinputIN3c104HalfEEEvPT_PKS5_iiii.has_dyn_sized_stack, 0
	.set _ZN2at6native12_GLOBAL__N_133atomic_adaptive_average_gradinputIN3c104HalfEEEvPT_PKS5_iiii.has_recursion, 0
	.set _ZN2at6native12_GLOBAL__N_133atomic_adaptive_average_gradinputIN3c104HalfEEEvPT_PKS5_iiii.has_indirect_call, 0
	.section	.AMDGPU.csdata,"",@progbits
; Kernel info:
; codeLenInByte = 2744
; TotalNumSgprs: 55
; NumVgprs: 22
; ScratchSize: 0
; MemoryBound: 0
; FloatMode: 240
; IeeeMode: 1
; LDSByteSize: 0 bytes/workgroup (compile time only)
; SGPRBlocks: 6
; VGPRBlocks: 5
; NumSGPRsForWavesPerEU: 55
; NumVGPRsForWavesPerEU: 22
; Occupancy: 10
; WaveLimiterHint : 0
; COMPUTE_PGM_RSRC2:SCRATCH_EN: 0
; COMPUTE_PGM_RSRC2:USER_SGPR: 6
; COMPUTE_PGM_RSRC2:TRAP_HANDLER: 0
; COMPUTE_PGM_RSRC2:TGID_X_EN: 1
; COMPUTE_PGM_RSRC2:TGID_Y_EN: 1
; COMPUTE_PGM_RSRC2:TGID_Z_EN: 0
; COMPUTE_PGM_RSRC2:TIDIG_COMP_CNT: 1
	.section	.text._ZN2at6native12_GLOBAL__N_126adaptive_average_gradinputIN3c104HalfEEEvPT_PKS5_iiii,"axG",@progbits,_ZN2at6native12_GLOBAL__N_126adaptive_average_gradinputIN3c104HalfEEEvPT_PKS5_iiii,comdat
	.globl	_ZN2at6native12_GLOBAL__N_126adaptive_average_gradinputIN3c104HalfEEEvPT_PKS5_iiii ; -- Begin function _ZN2at6native12_GLOBAL__N_126adaptive_average_gradinputIN3c104HalfEEEvPT_PKS5_iiii
	.p2align	8
	.type	_ZN2at6native12_GLOBAL__N_126adaptive_average_gradinputIN3c104HalfEEEvPT_PKS5_iiii,@function
_ZN2at6native12_GLOBAL__N_126adaptive_average_gradinputIN3c104HalfEEEvPT_PKS5_iiii: ; @_ZN2at6native12_GLOBAL__N_126adaptive_average_gradinputIN3c104HalfEEEvPT_PKS5_iiii
; %bb.0:
	s_load_dword s2, s[4:5], 0x2c
	s_load_dwordx4 s[8:11], s[4:5], 0x10
	s_add_u32 s0, s4, 32
	s_addc_u32 s1, s5, 0
	s_waitcnt lgkmcnt(0)
	s_lshr_b32 s3, s2, 16
	s_mul_i32 s7, s7, s3
	v_add_u32_e32 v13, s7, v1
	v_cmp_gt_i32_e32 vcc, s8, v13
	s_and_saveexec_b64 s[12:13], vcc
	s_cbranch_execz .LBB17_28
; %bb.1:
	s_load_dwordx4 s[12:15], s[4:5], 0x0
	s_mul_i32 s4, s10, s6
	s_mul_i32 s4, s4, s11
	s_ashr_i32 s5, s4, 31
	s_lshl_b64 s[4:5], s[4:5], 1
	s_waitcnt lgkmcnt(0)
	s_add_u32 s33, s14, s4
	s_mul_i32 s4, s8, s6
	s_mul_i32 s4, s4, s9
	s_addc_u32 s36, s15, s5
	s_ashr_i32 s5, s4, 31
	s_load_dword s39, s[0:1], 0x4
	s_lshl_b64 s[0:1], s[4:5], 1
	s_add_u32 s37, s12, s0
	s_addc_u32 s38, s13, s1
	s_abs_i32 s41, s8
	v_cvt_f32_u32_e32 v1, s41
	s_abs_i32 s47, s9
	v_cvt_f32_u32_e32 v2, s47
	;; [unrolled: 2-line block ×3, first 2 shown]
	s_abs_i32 s52, s11
	v_rcp_iflag_f32_e32 v1, v1
	v_cvt_f32_u32_e32 v5, s52
	v_rcp_iflag_f32_e32 v2, v2
	v_rcp_iflag_f32_e32 v4, v4
	v_mul_f32_e32 v1, 0x4f7ffffe, v1
	v_rcp_iflag_f32_e32 v5, v5
	v_cvt_u32_f32_e32 v1, v1
	v_mul_f32_e32 v2, 0x4f7ffffe, v2
	v_cvt_u32_f32_e32 v2, v2
	v_mul_f32_e32 v4, 0x4f7ffffe, v4
	s_and_b32 s40, s2, 0xffff
	s_sub_i32 s2, 0, s41
	v_cvt_u32_f32_e32 v4, v4
	v_mul_f32_e32 v5, 0x4f7ffffe, v5
	v_mul_lo_u32 v3, s2, v1
	v_cvt_u32_f32_e32 v5, v5
	s_sub_i32 s2, 0, s47
	v_mul_lo_u32 v6, s2, v2
	s_sub_i32 s2, 0, s51
	v_mul_lo_u32 v7, s2, v4
	s_sub_i32 s2, 0, s52
	v_mul_hi_u32 v3, v1, v3
	v_mul_lo_u32 v8, s2, v5
	s_ashr_i32 s44, s8, 31
	s_waitcnt lgkmcnt(0)
	s_mul_i32 s39, s39, s3
	v_add_u32_e32 v14, v1, v3
	v_mul_hi_u32 v3, v2, v6
	v_mul_hi_u32 v6, v4, v7
	;; [unrolled: 1-line block ×3, first 2 shown]
	s_ashr_i32 s42, s10, 31
	s_mov_b32 s43, s10
	s_mov_b32 s45, s8
	v_cmp_gt_i32_e64 s[0:1], s9, v0
	s_ashr_i32 s46, s11, 31
	s_mov_b32 s48, s11
	s_ashr_i32 s49, s9, 31
	s_mov_b32 s50, s9
	v_mov_b32_e32 v1, 0
	v_add_u32_e32 v15, v2, v3
	v_add_u32_e32 v16, v4, v6
	v_add_u32_e32 v17, v5, v7
	s_sub_i32 s53, 0, s11
	s_mov_b64 s[12:13], 0
	s_ashr_i32 s14, s44, 31
	s_branch .LBB17_3
.LBB17_2:                               ;   in Loop: Header=BB17_3 Depth=1
	s_or_b64 exec, exec, s[16:17]
	v_add_u32_e32 v13, s39, v13
	v_cmp_le_i32_e32 vcc, s8, v13
	s_or_b64 s[12:13], vcc, s[12:13]
	s_andn2_b64 exec, exec, s[12:13]
	s_cbranch_execz .LBB17_28
.LBB17_3:                               ; =>This Loop Header: Depth=1
                                        ;     Child Loop BB17_10 Depth 2
                                        ;       Child Loop BB17_17 Depth 3
                                        ;         Child Loop BB17_24 Depth 4
	v_add_u32_e32 v2, 1, v13
	v_mad_i64_i32 v[3:4], s[2:3], v2, s43, -1
                                        ; implicit-def: $vgpr5_vgpr6
	v_or_b32_e32 v2, s44, v4
	v_cmp_ne_u64_e32 vcc, 0, v[1:2]
	s_and_saveexec_b64 s[2:3], vcc
	s_xor_b64 s[4:5], exec, s[2:3]
	s_cbranch_execnz .LBB17_6
; %bb.4:                                ;   in Loop: Header=BB17_3 Depth=1
	s_andn2_saveexec_b64 s[2:3], s[4:5]
	s_cbranch_execnz .LBB17_7
.LBB17_5:                               ;   in Loop: Header=BB17_3 Depth=1
	s_or_b64 exec, exec, s[2:3]
	s_and_saveexec_b64 s[16:17], s[0:1]
	s_cbranch_execz .LBB17_2
	s_branch .LBB17_8
.LBB17_6:                               ;   in Loop: Header=BB17_3 Depth=1
	s_add_u32 s2, s45, s14
	s_mov_b32 s15, s14
	s_addc_u32 s3, s44, s14
	s_xor_b64 s[6:7], s[2:3], s[14:15]
	v_cvt_f32_u32_e32 v2, s6
	v_cvt_f32_u32_e32 v5, s7
	s_sub_u32 s15, 0, s6
	s_subb_u32 s16, 0, s7
	v_ashrrev_i32_e32 v6, 31, v4
	v_mac_f32_e32 v2, 0x4f800000, v5
	v_rcp_f32_e32 v2, v2
	v_mul_f32_e32 v2, 0x5f7ffffc, v2
	v_mul_f32_e32 v5, 0x2f800000, v2
	v_trunc_f32_e32 v5, v5
	v_mac_f32_e32 v2, 0xcf800000, v5
	v_cvt_u32_f32_e32 v5, v5
	v_cvt_u32_f32_e32 v2, v2
	v_readfirstlane_b32 s17, v5
	v_readfirstlane_b32 s2, v2
	s_mul_i32 s3, s15, s17
	s_mul_hi_u32 s19, s15, s2
	s_mul_i32 s18, s16, s2
	s_add_i32 s3, s19, s3
	s_add_i32 s3, s3, s18
	s_mul_i32 s20, s15, s2
	s_mul_i32 s19, s2, s3
	s_mul_hi_u32 s21, s2, s20
	s_mul_hi_u32 s18, s2, s3
	s_add_u32 s19, s21, s19
	s_addc_u32 s18, 0, s18
	s_mul_hi_u32 s22, s17, s20
	s_mul_i32 s20, s17, s20
	s_add_u32 s19, s19, s20
	s_mul_hi_u32 s21, s17, s3
	s_addc_u32 s18, s18, s22
	s_addc_u32 s19, s21, 0
	s_mul_i32 s3, s17, s3
	s_add_u32 s3, s18, s3
	s_addc_u32 s18, 0, s19
	s_add_u32 s19, s2, s3
	s_cselect_b64 s[2:3], -1, 0
	s_cmp_lg_u64 s[2:3], 0
	s_addc_u32 s17, s17, s18
	s_mul_i32 s2, s15, s17
	s_mul_hi_u32 s3, s15, s19
	s_add_i32 s2, s3, s2
	s_mul_i32 s16, s16, s19
	s_add_i32 s2, s2, s16
	s_mul_i32 s15, s15, s19
	s_mul_hi_u32 s16, s17, s15
	s_mul_i32 s18, s17, s15
	s_mul_i32 s21, s19, s2
	s_mul_hi_u32 s15, s19, s15
	s_mul_hi_u32 s20, s19, s2
	s_add_u32 s15, s15, s21
	s_addc_u32 s20, 0, s20
	s_add_u32 s15, s15, s18
	s_mul_hi_u32 s3, s17, s2
	s_addc_u32 s15, s20, s16
	s_addc_u32 s3, s3, 0
	s_mul_i32 s2, s17, s2
	s_add_u32 s2, s15, s2
	s_addc_u32 s15, 0, s3
	s_add_u32 s16, s19, s2
	s_cselect_b64 s[2:3], -1, 0
	s_cmp_lg_u64 s[2:3], 0
	v_add_co_u32_e32 v2, vcc, v3, v6
	s_addc_u32 s15, s17, s15
	v_xor_b32_e32 v7, v2, v6
	v_mad_u64_u32 v[2:3], s[2:3], v7, s15, 0
	v_mul_hi_u32 v5, v7, s16
	v_addc_co_u32_e32 v4, vcc, v4, v6, vcc
	v_xor_b32_e32 v8, v4, v6
	v_add_co_u32_e32 v9, vcc, v5, v2
	v_addc_co_u32_e32 v10, vcc, 0, v3, vcc
	v_mad_u64_u32 v[2:3], s[2:3], v8, s16, 0
	v_mad_u64_u32 v[4:5], s[2:3], v8, s15, 0
	v_add_co_u32_e32 v2, vcc, v9, v2
	v_addc_co_u32_e32 v2, vcc, v10, v3, vcc
	v_addc_co_u32_e32 v3, vcc, 0, v5, vcc
	v_add_co_u32_e32 v4, vcc, v2, v4
	v_addc_co_u32_e32 v2, vcc, 0, v3, vcc
	v_mul_lo_u32 v5, s7, v4
	v_mul_lo_u32 v9, s6, v2
	v_mad_u64_u32 v[2:3], s[2:3], s6, v4, 0
	v_add3_u32 v3, v3, v9, v5
	v_sub_u32_e32 v5, v8, v3
	v_mov_b32_e32 v9, s7
	v_sub_co_u32_e32 v2, vcc, v7, v2
	v_subb_co_u32_e64 v5, s[2:3], v5, v9, vcc
	v_subrev_co_u32_e64 v7, s[2:3], s6, v2
	v_subbrev_co_u32_e64 v5, s[2:3], 0, v5, s[2:3]
	v_cmp_le_u32_e64 s[2:3], s7, v5
	v_subb_co_u32_e32 v3, vcc, v8, v3, vcc
	v_cndmask_b32_e64 v9, 0, -1, s[2:3]
	v_cmp_le_u32_e64 s[2:3], s6, v7
	v_cmp_le_u32_e32 vcc, s7, v3
	v_cndmask_b32_e64 v7, 0, -1, s[2:3]
	v_cmp_eq_u32_e64 s[2:3], s7, v5
	v_cndmask_b32_e64 v8, 0, -1, vcc
	v_cmp_le_u32_e32 vcc, s6, v2
	v_cndmask_b32_e64 v5, v9, v7, s[2:3]
	v_cndmask_b32_e64 v2, 0, -1, vcc
	v_cmp_eq_u32_e32 vcc, s7, v3
	v_add_co_u32_e64 v7, s[2:3], 2, v4
	v_add_co_u32_e64 v9, s[2:3], 1, v4
	v_cndmask_b32_e32 v2, v8, v2, vcc
	v_cmp_ne_u32_e32 vcc, 0, v5
	v_cndmask_b32_e32 v3, v9, v7, vcc
	v_cmp_ne_u32_e32 vcc, 0, v2
	v_cndmask_b32_e32 v2, v4, v3, vcc
	v_xor_b32_e32 v3, s14, v6
	v_xor_b32_e32 v2, v2, v3
	v_sub_co_u32_e32 v5, vcc, v2, v3
                                        ; implicit-def: $vgpr3_vgpr4
	s_andn2_saveexec_b64 s[2:3], s[4:5]
	s_cbranch_execz .LBB17_5
.LBB17_7:                               ;   in Loop: Header=BB17_3 Depth=1
	v_cvt_f32_u32_e32 v2, s45
	s_sub_i32 s4, 0, s45
	v_rcp_iflag_f32_e32 v2, v2
	v_mul_f32_e32 v2, 0x4f7ffffe, v2
	v_cvt_u32_f32_e32 v2, v2
	v_mul_lo_u32 v4, s4, v2
	v_mul_hi_u32 v4, v2, v4
	v_add_u32_e32 v2, v2, v4
	v_mul_hi_u32 v2, v3, v2
	v_mul_lo_u32 v4, v2, s45
	v_add_u32_e32 v5, 1, v2
	v_sub_u32_e32 v3, v3, v4
	v_subrev_u32_e32 v4, s45, v3
	v_cmp_le_u32_e32 vcc, s45, v3
	v_cndmask_b32_e32 v3, v3, v4, vcc
	v_cndmask_b32_e32 v2, v2, v5, vcc
	v_add_u32_e32 v4, 1, v2
	v_cmp_le_u32_e32 vcc, s45, v3
	v_cndmask_b32_e32 v5, v2, v4, vcc
	s_or_b64 exec, exec, s[2:3]
	s_and_saveexec_b64 s[16:17], s[0:1]
	s_cbranch_execz .LBB17_2
.LBB17_8:                               ;   in Loop: Header=BB17_3 Depth=1
	v_sub_u32_e32 v2, 0, v13
	v_max_i32_e32 v2, v13, v2
	v_mul_hi_u32 v3, v2, v14
	v_ashrrev_i32_e32 v6, 31, v13
	v_xor_b32_e32 v6, s44, v6
	v_add_u32_e32 v18, 1, v5
	v_mul_lo_u32 v4, v3, s41
	v_add_u32_e32 v7, 1, v3
	s_mov_b64 s[18:19], 0
	v_sub_u32_e32 v2, v2, v4
	v_cmp_le_u32_e32 vcc, s41, v2
	v_subrev_u32_e32 v4, s41, v2
	v_cndmask_b32_e32 v3, v3, v7, vcc
	v_cndmask_b32_e32 v2, v2, v4, vcc
	v_add_u32_e32 v4, 1, v3
	v_cmp_le_u32_e32 vcc, s41, v2
	v_cndmask_b32_e32 v2, v3, v4, vcc
	v_xor_b32_e32 v2, v2, v6
	v_sub_u32_e32 v3, v2, v6
	v_mul_lo_u32 v2, v3, s8
	v_mul_lo_u32 v6, v13, s9
	v_sub_u32_e32 v2, v13, v2
	v_mul_lo_u32 v2, v2, s10
	v_ashrrev_i32_e32 v7, 31, v6
	v_sub_u32_e32 v4, 0, v2
	v_max_i32_e32 v4, v2, v4
	v_mul_hi_u32 v8, v4, v14
	v_ashrrev_i32_e32 v2, 31, v2
	v_xor_b32_e32 v2, s44, v2
	v_mul_lo_u32 v5, v8, s41
	v_add_u32_e32 v9, 1, v8
	v_sub_u32_e32 v4, v4, v5
	v_cmp_le_u32_e32 vcc, s41, v4
	v_cndmask_b32_e32 v5, v8, v9, vcc
	v_subrev_u32_e32 v8, s41, v4
	v_cndmask_b32_e32 v4, v4, v8, vcc
	v_add_u32_e32 v8, 1, v5
	v_cmp_le_u32_e32 vcc, s41, v4
	v_cndmask_b32_e32 v4, v5, v8, vcc
	v_xor_b32_e32 v4, v4, v2
	v_sub_u32_e32 v2, v4, v2
	v_mad_u64_u32 v[3:4], s[2:3], v3, s10, v[2:3]
	v_lshlrev_b64 v[4:5], 1, v[6:7]
	v_mov_b32_e32 v2, s38
	v_mul_lo_u32 v21, s11, v3
	v_add_co_u32_e32 v19, vcc, s37, v4
	v_addc_co_u32_e32 v20, vcc, v2, v5, vcc
	v_cmp_lt_i32_e64 s[2:3], v3, v18
	v_mov_b32_e32 v4, v0
	s_branch .LBB17_10
.LBB17_9:                               ;   in Loop: Header=BB17_10 Depth=2
	s_or_b64 exec, exec, s[20:21]
	v_add_u32_e32 v4, s40, v4
	v_cmp_le_i32_e32 vcc, s9, v4
	s_or_b64 s[18:19], vcc, s[18:19]
	s_andn2_b64 exec, exec, s[18:19]
	s_cbranch_execz .LBB17_2
.LBB17_10:                              ;   Parent Loop BB17_3 Depth=1
                                        ; =>  This Loop Header: Depth=2
                                        ;       Child Loop BB17_17 Depth 3
                                        ;         Child Loop BB17_24 Depth 4
	v_add_u32_e32 v7, 1, v4
	v_mad_u64_u32 v[5:6], s[4:5], v7, s48, -1
	v_mov_b32_e32 v2, v6
	v_mad_u64_u32 v[6:7], s[4:5], v7, s46, v[2:3]
                                        ; implicit-def: $vgpr7_vgpr8
	v_or_b32_e32 v2, s49, v6
	v_cmp_ne_u64_e32 vcc, 0, v[1:2]
	v_mov_b32_e32 v2, v6
	s_and_saveexec_b64 s[4:5], vcc
	s_xor_b64 s[6:7], exec, s[4:5]
	s_cbranch_execnz .LBB17_13
; %bb.11:                               ;   in Loop: Header=BB17_10 Depth=2
	s_andn2_saveexec_b64 s[4:5], s[6:7]
	s_cbranch_execnz .LBB17_14
.LBB17_12:                              ;   in Loop: Header=BB17_10 Depth=2
	s_or_b64 exec, exec, s[4:5]
	v_mov_b32_e32 v5, v1
	s_and_saveexec_b64 s[20:21], s[2:3]
	s_cbranch_execz .LBB17_9
	s_branch .LBB17_15
.LBB17_13:                              ;   in Loop: Header=BB17_10 Depth=2
	s_ashr_i32 s20, s49, 31
	s_add_u32 s4, s50, s20
	s_mov_b32 s21, s20
	s_addc_u32 s5, s49, s20
	s_xor_b64 s[22:23], s[4:5], s[20:21]
	v_cvt_f32_u32_e32 v6, s22
	v_cvt_f32_u32_e32 v7, s23
	s_sub_u32 s15, 0, s22
	s_subb_u32 s21, 0, s23
	v_ashrrev_i32_e32 v9, 31, v2
	v_mac_f32_e32 v6, 0x4f800000, v7
	v_rcp_f32_e32 v6, v6
	v_add_co_u32_e32 v5, vcc, v5, v9
	v_xor_b32_e32 v10, v5, v9
	v_mul_f32_e32 v6, 0x5f7ffffc, v6
	v_mul_f32_e32 v7, 0x2f800000, v6
	v_trunc_f32_e32 v7, v7
	v_mac_f32_e32 v6, 0xcf800000, v7
	v_cvt_u32_f32_e32 v7, v7
	v_cvt_u32_f32_e32 v6, v6
	v_addc_co_u32_e32 v2, vcc, v2, v9, vcc
	v_readfirstlane_b32 s24, v7
	v_readfirstlane_b32 s4, v6
	s_mul_i32 s5, s15, s24
	s_mul_hi_u32 s26, s15, s4
	s_mul_i32 s25, s21, s4
	s_add_i32 s5, s26, s5
	s_add_i32 s5, s5, s25
	s_mul_i32 s27, s15, s4
	s_mul_i32 s26, s4, s5
	s_mul_hi_u32 s28, s4, s27
	s_mul_hi_u32 s25, s4, s5
	s_add_u32 s26, s28, s26
	s_addc_u32 s25, 0, s25
	s_mul_hi_u32 s29, s24, s27
	s_mul_i32 s27, s24, s27
	s_add_u32 s26, s26, s27
	s_mul_hi_u32 s28, s24, s5
	s_addc_u32 s25, s25, s29
	s_addc_u32 s26, s28, 0
	s_mul_i32 s5, s24, s5
	s_add_u32 s5, s25, s5
	s_addc_u32 s25, 0, s26
	s_add_u32 s26, s4, s5
	s_cselect_b64 s[4:5], -1, 0
	s_cmp_lg_u64 s[4:5], 0
	s_addc_u32 s24, s24, s25
	s_mul_i32 s4, s15, s24
	s_mul_hi_u32 s5, s15, s26
	s_add_i32 s4, s5, s4
	s_mul_i32 s21, s21, s26
	s_add_i32 s4, s4, s21
	s_mul_i32 s15, s15, s26
	s_mul_hi_u32 s21, s24, s15
	s_mul_i32 s25, s24, s15
	s_mul_i32 s28, s26, s4
	s_mul_hi_u32 s15, s26, s15
	s_mul_hi_u32 s27, s26, s4
	s_add_u32 s15, s15, s28
	s_addc_u32 s27, 0, s27
	s_add_u32 s15, s15, s25
	s_mul_hi_u32 s5, s24, s4
	s_addc_u32 s15, s27, s21
	s_addc_u32 s5, s5, 0
	s_mul_i32 s4, s24, s4
	s_add_u32 s4, s15, s4
	s_addc_u32 s15, 0, s5
	s_add_u32 s21, s26, s4
	s_cselect_b64 s[4:5], -1, 0
	s_cmp_lg_u64 s[4:5], 0
	s_addc_u32 s15, s24, s15
	v_mad_u64_u32 v[5:6], s[4:5], v10, s15, 0
	v_mul_hi_u32 v7, v10, s21
	v_xor_b32_e32 v2, v2, v9
	v_add_co_u32_e32 v11, vcc, v7, v5
	v_addc_co_u32_e32 v12, vcc, 0, v6, vcc
	v_mad_u64_u32 v[5:6], s[4:5], v2, s21, 0
	v_mad_u64_u32 v[7:8], s[4:5], v2, s15, 0
	v_add_co_u32_e32 v5, vcc, v11, v5
	v_addc_co_u32_e32 v5, vcc, v12, v6, vcc
	v_addc_co_u32_e32 v6, vcc, 0, v8, vcc
	v_add_co_u32_e32 v7, vcc, v5, v7
	v_addc_co_u32_e32 v5, vcc, 0, v6, vcc
	v_mul_lo_u32 v8, s23, v7
	v_mul_lo_u32 v11, s22, v5
	v_mad_u64_u32 v[5:6], s[4:5], s22, v7, 0
	v_add3_u32 v6, v6, v11, v8
	v_sub_u32_e32 v8, v2, v6
	v_mov_b32_e32 v11, s23
	v_sub_co_u32_e32 v5, vcc, v10, v5
	v_subb_co_u32_e64 v8, s[4:5], v8, v11, vcc
	v_subrev_co_u32_e64 v10, s[4:5], s22, v5
	v_subbrev_co_u32_e64 v8, s[4:5], 0, v8, s[4:5]
	v_cmp_le_u32_e64 s[4:5], s23, v8
	v_subb_co_u32_e32 v2, vcc, v2, v6, vcc
	v_cndmask_b32_e64 v11, 0, -1, s[4:5]
	v_cmp_le_u32_e64 s[4:5], s22, v10
	v_cmp_le_u32_e32 vcc, s23, v2
	v_cndmask_b32_e64 v10, 0, -1, s[4:5]
	v_cmp_eq_u32_e64 s[4:5], s23, v8
	v_cndmask_b32_e64 v6, 0, -1, vcc
	v_cmp_le_u32_e32 vcc, s22, v5
	v_cndmask_b32_e64 v8, v11, v10, s[4:5]
	v_cndmask_b32_e64 v5, 0, -1, vcc
	v_cmp_eq_u32_e32 vcc, s23, v2
	v_add_co_u32_e64 v10, s[4:5], 2, v7
	v_add_co_u32_e64 v11, s[4:5], 1, v7
	v_cndmask_b32_e32 v2, v6, v5, vcc
	v_cmp_ne_u32_e32 vcc, 0, v8
	v_cndmask_b32_e32 v5, v11, v10, vcc
	v_cmp_ne_u32_e32 vcc, 0, v2
	v_cndmask_b32_e32 v2, v7, v5, vcc
	v_xor_b32_e32 v5, s20, v9
	v_xor_b32_e32 v2, v2, v5
	v_sub_co_u32_e32 v7, vcc, v2, v5
                                        ; implicit-def: $vgpr5_vgpr6
	s_andn2_saveexec_b64 s[4:5], s[6:7]
	s_cbranch_execz .LBB17_12
.LBB17_14:                              ;   in Loop: Header=BB17_10 Depth=2
	v_cvt_f32_u32_e32 v2, s50
	s_sub_i32 s6, 0, s50
	v_rcp_iflag_f32_e32 v2, v2
	v_mul_f32_e32 v2, 0x4f7ffffe, v2
	v_cvt_u32_f32_e32 v2, v2
	v_mul_lo_u32 v6, s6, v2
	v_mul_hi_u32 v6, v2, v6
	v_add_u32_e32 v2, v2, v6
	v_mul_hi_u32 v2, v5, v2
	v_mul_lo_u32 v6, v2, s50
	v_add_u32_e32 v7, 1, v2
	v_sub_u32_e32 v5, v5, v6
	v_subrev_u32_e32 v6, s50, v5
	v_cmp_le_u32_e32 vcc, s50, v5
	v_cndmask_b32_e32 v5, v5, v6, vcc
	v_cndmask_b32_e32 v2, v2, v7, vcc
	v_add_u32_e32 v6, 1, v2
	v_cmp_le_u32_e32 vcc, s50, v5
	v_cndmask_b32_e32 v7, v2, v6, vcc
	s_or_b64 exec, exec, s[4:5]
	v_mov_b32_e32 v5, v1
	s_and_saveexec_b64 s[20:21], s[2:3]
	s_cbranch_execz .LBB17_9
.LBB17_15:                              ;   in Loop: Header=BB17_10 Depth=2
	v_mul_hi_u32 v2, v4, v15
	v_add_u32_e32 v22, 1, v7
	v_lshlrev_b64 v[7:8], 1, v[4:5]
	v_mul_lo_u32 v5, v4, s11
	v_mul_lo_u32 v6, v2, s47
	v_add_u32_e32 v9, 1, v2
	s_mov_b64 s[22:23], 0
	v_sub_u32_e32 v10, 0, v5
	v_max_i32_e32 v10, v5, v10
	v_sub_u32_e32 v6, v4, v6
	v_mul_hi_u32 v11, v10, v15
	v_cmp_le_u32_e32 vcc, s47, v6
	v_cndmask_b32_e32 v2, v2, v9, vcc
	v_subrev_u32_e32 v9, s47, v6
	v_cndmask_b32_e32 v6, v6, v9, vcc
	v_cmp_le_u32_e32 vcc, s47, v6
	v_mul_lo_u32 v6, v11, s47
	v_add_u32_e32 v9, 1, v2
	v_cndmask_b32_e32 v2, v2, v9, vcc
	v_xor_b32_e32 v2, s49, v2
	v_subrev_u32_e32 v9, s49, v2
	v_ashrrev_i32_e32 v2, 31, v5
	v_sub_u32_e32 v5, v10, v6
	v_add_u32_e32 v6, 1, v11
	v_cmp_le_u32_e32 vcc, s47, v5
	v_subrev_u32_e32 v10, s47, v5
	v_cndmask_b32_e32 v6, v11, v6, vcc
	v_cndmask_b32_e32 v5, v5, v10, vcc
	v_add_u32_e32 v10, 1, v6
	v_cmp_le_u32_e32 vcc, s47, v5
	v_xor_b32_e32 v2, s49, v2
	v_cndmask_b32_e32 v5, v6, v10, vcc
	v_xor_b32_e32 v5, v5, v2
	v_sub_u32_e32 v2, v5, v2
	v_mad_u64_u32 v[5:6], s[4:5], v9, s11, v[2:3]
	v_add_co_u32_e32 v6, vcc, v19, v7
	v_addc_co_u32_e32 v7, vcc, v20, v8, vcc
	v_cmp_lt_i32_e64 s[4:5], v5, v22
	v_mov_b32_e32 v23, v21
	v_mov_b32_e32 v12, v3
	s_branch .LBB17_17
.LBB17_16:                              ;   in Loop: Header=BB17_17 Depth=3
	s_or_b64 exec, exec, s[24:25]
	v_cmp_ge_i32_e32 vcc, v24, v18
	v_add_u32_e32 v23, s11, v23
	s_or_b64 s[22:23], vcc, s[22:23]
	v_mov_b32_e32 v12, v24
	s_andn2_b64 exec, exec, s[22:23]
	s_cbranch_execz .LBB17_9
.LBB17_17:                              ;   Parent Loop BB17_3 Depth=1
                                        ;     Parent Loop BB17_10 Depth=2
                                        ; =>    This Loop Header: Depth=3
                                        ;         Child Loop BB17_24 Depth 4
	v_add_u32_e32 v24, 1, v12
	s_and_saveexec_b64 s[24:25], s[4:5]
	s_cbranch_execz .LBB17_16
; %bb.18:                               ;   in Loop: Header=BB17_17 Depth=3
	v_mad_i64_i32 v[8:9], s[6:7], v24, s45, -1
                                        ; implicit-def: $vgpr10_vgpr11
	v_or_b32_e32 v2, s42, v9
	v_cmp_ne_u64_e32 vcc, 0, v[1:2]
	s_and_saveexec_b64 s[6:7], vcc
	s_xor_b64 s[26:27], exec, s[6:7]
	s_cbranch_execz .LBB17_20
; %bb.19:                               ;   in Loop: Header=BB17_17 Depth=3
	s_ashr_i32 s28, s42, 31
	s_add_u32 s6, s43, s28
	s_mov_b32 s29, s28
	s_addc_u32 s7, s42, s28
	s_xor_b64 s[30:31], s[6:7], s[28:29]
	v_cvt_f32_u32_e32 v2, s30
	v_cvt_f32_u32_e32 v10, s31
	s_sub_u32 s15, 0, s30
	s_subb_u32 s29, 0, s31
	v_mac_f32_e32 v2, 0x4f800000, v10
	v_rcp_f32_e32 v2, v2
	v_mul_f32_e32 v2, 0x5f7ffffc, v2
	v_mul_f32_e32 v10, 0x2f800000, v2
	v_trunc_f32_e32 v10, v10
	v_mac_f32_e32 v2, 0xcf800000, v10
	v_cvt_u32_f32_e32 v10, v10
	v_cvt_u32_f32_e32 v2, v2
	v_readfirstlane_b32 s34, v10
	v_readfirstlane_b32 s6, v2
	s_mul_i32 s7, s15, s34
	s_mul_hi_u32 s54, s15, s6
	s_mul_i32 s35, s29, s6
	s_add_i32 s7, s54, s7
	s_add_i32 s7, s7, s35
	s_mul_i32 s55, s15, s6
	s_mul_i32 s54, s6, s7
	s_mul_hi_u32 s56, s6, s55
	s_mul_hi_u32 s35, s6, s7
	s_add_u32 s54, s56, s54
	s_addc_u32 s35, 0, s35
	s_mul_hi_u32 s57, s34, s55
	s_mul_i32 s55, s34, s55
	s_add_u32 s54, s54, s55
	s_mul_hi_u32 s56, s34, s7
	s_addc_u32 s35, s35, s57
	s_addc_u32 s54, s56, 0
	s_mul_i32 s7, s34, s7
	s_add_u32 s7, s35, s7
	s_addc_u32 s35, 0, s54
	s_add_u32 s54, s6, s7
	s_cselect_b64 s[6:7], -1, 0
	s_cmp_lg_u64 s[6:7], 0
	s_addc_u32 s34, s34, s35
	s_mul_i32 s6, s15, s34
	s_mul_hi_u32 s7, s15, s54
	s_add_i32 s6, s7, s6
	s_mul_i32 s29, s29, s54
	s_add_i32 s6, s6, s29
	s_mul_i32 s15, s15, s54
	s_mul_hi_u32 s29, s34, s15
	s_mul_i32 s35, s34, s15
	s_mul_i32 s56, s54, s6
	s_mul_hi_u32 s15, s54, s15
	s_mul_hi_u32 s55, s54, s6
	s_add_u32 s15, s15, s56
	s_addc_u32 s55, 0, s55
	s_add_u32 s15, s15, s35
	s_mul_hi_u32 s7, s34, s6
	s_addc_u32 s15, s55, s29
	s_addc_u32 s7, s7, 0
	s_mul_i32 s6, s34, s6
	s_add_u32 s6, s15, s6
	s_addc_u32 s15, 0, s7
	s_add_u32 s29, s54, s6
	s_cselect_b64 s[6:7], -1, 0
	v_ashrrev_i32_e32 v2, 31, v9
	s_cmp_lg_u64 s[6:7], 0
	v_add_co_u32_e32 v8, vcc, v8, v2
	s_addc_u32 s15, s34, s15
	v_xor_b32_e32 v25, v8, v2
	v_addc_co_u32_e32 v10, vcc, v9, v2, vcc
	v_mad_u64_u32 v[8:9], s[6:7], v25, s15, 0
	v_mul_hi_u32 v11, v25, s29
	v_xor_b32_e32 v26, v10, v2
	v_xor_b32_e32 v2, s28, v2
	v_add_co_u32_e32 v27, vcc, v11, v8
	v_addc_co_u32_e32 v28, vcc, 0, v9, vcc
	v_mad_u64_u32 v[8:9], s[6:7], v26, s29, 0
	v_mad_u64_u32 v[10:11], s[6:7], v26, s15, 0
	v_add_co_u32_e32 v8, vcc, v27, v8
	v_addc_co_u32_e32 v8, vcc, v28, v9, vcc
	v_addc_co_u32_e32 v9, vcc, 0, v11, vcc
	v_add_co_u32_e32 v10, vcc, v8, v10
	v_addc_co_u32_e32 v8, vcc, 0, v9, vcc
	v_mul_lo_u32 v11, s31, v10
	v_mul_lo_u32 v27, s30, v8
	v_mad_u64_u32 v[8:9], s[6:7], s30, v10, 0
	v_add3_u32 v9, v9, v27, v11
	v_sub_u32_e32 v11, v26, v9
	v_mov_b32_e32 v27, s31
	v_sub_co_u32_e32 v8, vcc, v25, v8
	v_subb_co_u32_e64 v11, s[6:7], v11, v27, vcc
	v_subrev_co_u32_e64 v25, s[6:7], s30, v8
	v_subbrev_co_u32_e64 v11, s[6:7], 0, v11, s[6:7]
	v_cmp_le_u32_e64 s[6:7], s31, v11
	v_subb_co_u32_e32 v9, vcc, v26, v9, vcc
	v_cndmask_b32_e64 v27, 0, -1, s[6:7]
	v_cmp_le_u32_e64 s[6:7], s30, v25
	v_cmp_le_u32_e32 vcc, s31, v9
	v_cndmask_b32_e64 v25, 0, -1, s[6:7]
	v_cmp_eq_u32_e64 s[6:7], s31, v11
	v_cndmask_b32_e64 v26, 0, -1, vcc
	v_cmp_le_u32_e32 vcc, s30, v8
	v_cndmask_b32_e64 v11, v27, v25, s[6:7]
	v_cndmask_b32_e64 v8, 0, -1, vcc
	v_cmp_eq_u32_e32 vcc, s31, v9
	v_add_co_u32_e64 v25, s[6:7], 2, v10
	v_add_co_u32_e64 v27, s[6:7], 1, v10
	v_cndmask_b32_e32 v8, v26, v8, vcc
	v_cmp_ne_u32_e32 vcc, 0, v11
	v_cndmask_b32_e32 v9, v27, v25, vcc
	v_cmp_ne_u32_e32 vcc, 0, v8
	v_cndmask_b32_e32 v8, v10, v9, vcc
	v_xor_b32_e32 v8, v8, v2
	v_sub_co_u32_e32 v10, vcc, v8, v2
                                        ; implicit-def: $vgpr8_vgpr9
.LBB17_20:                              ;   in Loop: Header=BB17_17 Depth=3
	s_andn2_saveexec_b64 s[26:27], s[26:27]
	s_cbranch_execz .LBB17_22
; %bb.21:                               ;   in Loop: Header=BB17_17 Depth=3
	v_cvt_f32_u32_e32 v2, s43
	s_sub_i32 s6, 0, s43
	v_rcp_iflag_f32_e32 v2, v2
	v_mul_f32_e32 v2, 0x4f7ffffe, v2
	v_cvt_u32_f32_e32 v2, v2
	v_mul_lo_u32 v9, s6, v2
	v_mul_hi_u32 v9, v2, v9
	v_add_u32_e32 v2, v2, v9
	v_mul_hi_u32 v2, v8, v2
	v_mul_lo_u32 v9, v2, s43
	v_sub_u32_e32 v8, v8, v9
	v_cmp_le_u32_e32 vcc, s43, v8
	v_subrev_u32_e32 v9, s43, v8
	v_cndmask_b32_e32 v8, v8, v9, vcc
	v_cmp_le_u32_e64 s[6:7], s43, v8
	v_add_u32_e32 v8, 1, v2
	v_cndmask_b32_e32 v2, v2, v8, vcc
	v_add_u32_e32 v8, 1, v2
	v_cndmask_b32_e64 v10, v2, v8, s[6:7]
.LBB17_22:                              ;   in Loop: Header=BB17_17 Depth=3
	s_or_b64 exec, exec, s[26:27]
	global_load_ushort v25, v[6:7], off
	v_sub_u32_e32 v2, 0, v12
	v_max_i32_e32 v2, v12, v2
	v_mul_hi_u32 v8, v2, v16
	v_ashrrev_i32_e32 v11, 31, v12
	v_xor_b32_e32 v11, s42, v11
	s_mov_b64 s[26:27], 0
	v_mul_lo_u32 v9, v8, s51
	v_sub_u32_e32 v2, v2, v9
	v_add_u32_e32 v9, 1, v8
	v_cmp_le_u32_e32 vcc, s51, v2
	v_cndmask_b32_e32 v8, v8, v9, vcc
	v_subrev_u32_e32 v9, s51, v2
	v_cndmask_b32_e32 v2, v2, v9, vcc
	v_add_u32_e32 v9, 1, v8
	v_cmp_le_u32_e32 vcc, s51, v2
	v_cndmask_b32_e32 v2, v8, v9, vcc
	v_xor_b32_e32 v2, v2, v11
	v_sub_u32_e32 v2, v2, v11
	v_mul_lo_u32 v8, v2, s10
	v_mul_lo_u32 v2, v2, s8
	v_sub_u32_e32 v8, v12, v8
	v_mul_lo_u32 v8, v8, s8
	v_sub_u32_e32 v9, 0, v8
	v_max_i32_e32 v9, v8, v9
	v_mul_hi_u32 v11, v9, v16
	v_ashrrev_i32_e32 v8, 31, v8
	v_xor_b32_e32 v8, s42, v8
	v_mul_lo_u32 v12, v11, s51
	v_sub_u32_e32 v9, v9, v12
	v_add_u32_e32 v12, 1, v11
	v_cmp_le_u32_e32 vcc, s51, v9
	v_cndmask_b32_e32 v11, v11, v12, vcc
	v_subrev_u32_e32 v12, s51, v9
	v_cndmask_b32_e32 v9, v9, v12, vcc
	v_add_u32_e32 v12, 1, v11
	v_cmp_le_u32_e32 vcc, s51, v9
	v_cndmask_b32_e32 v9, v11, v12, vcc
	v_xor_b32_e32 v9, v9, v8
	v_sub_u32_e32 v8, v9, v8
	v_not_b32_e32 v9, v10
	v_add3_u32 v2, v8, v2, v9
	v_cvt_f32_i32_e32 v2, v2
	v_mov_b32_e32 v10, v5
	v_cvt_f16_f32_e32 v26, v2
	v_add_u32_e32 v2, 1, v5
	v_mad_i64_i32 v[8:9], s[6:7], s50, v2, -1
	s_branch .LBB17_24
.LBB17_23:                              ;   in Loop: Header=BB17_24 Depth=4
	s_or_b64 exec, exec, s[6:7]
	v_add_u32_e32 v27, v23, v10
	v_ashrrev_i32_e32 v28, 31, v27
	v_lshlrev_b64 v[27:28], 1, v[27:28]
	v_mov_b32_e32 v2, s36
	v_add_co_u32_e32 v27, vcc, s33, v27
	v_addc_co_u32_e32 v28, vcc, v2, v28, vcc
	global_load_ushort v2, v[27:28], off
	v_sub_u32_e32 v12, 0, v10
	v_max_i32_e32 v12, v10, v12
	v_mul_hi_u32 v27, v12, v17
	v_ashrrev_i32_e32 v29, 31, v10
	v_xor_b32_e32 v29, s46, v29
	v_mul_lo_u32 v28, v27, s52
	v_add_u32_e32 v30, 1, v27
	v_sub_u32_e32 v12, v12, v28
	v_cmp_le_u32_e32 vcc, s52, v12
	v_subrev_u32_e32 v28, s52, v12
	v_cndmask_b32_e32 v27, v27, v30, vcc
	v_cndmask_b32_e32 v12, v12, v28, vcc
	v_add_u32_e32 v28, 1, v27
	v_cmp_le_u32_e32 vcc, s52, v12
	v_cndmask_b32_e32 v12, v27, v28, vcc
	v_xor_b32_e32 v12, v12, v29
	v_sub_u32_e32 v12, v12, v29
	v_mad_u64_u32 v[27:28], s[6:7], s53, v12, v[10:11]
	v_cvt_f32_f16_e32 v30, v26
	v_mul_lo_u32 v12, v12, s9
	v_mul_lo_u32 v27, v27, s9
	v_not_b32_e32 v11, v11
	v_add_u32_e32 v10, 1, v10
	v_sub_u32_e32 v28, 0, v27
	v_max_i32_e32 v28, v27, v28
	v_mul_hi_u32 v29, v28, v17
	v_ashrrev_i32_e32 v27, 31, v27
	v_xor_b32_e32 v27, s46, v27
	v_mul_lo_u32 v31, v29, s52
	v_add_u32_e32 v32, 1, v29
	v_sub_u32_e32 v28, v28, v31
	v_cmp_le_u32_e32 vcc, s52, v28
	v_subrev_u32_e32 v31, s52, v28
	v_cndmask_b32_e32 v29, v29, v32, vcc
	v_cndmask_b32_e32 v28, v28, v31, vcc
	v_add_u32_e32 v31, 1, v29
	v_cmp_le_u32_e32 vcc, s52, v28
	v_cndmask_b32_e32 v28, v29, v31, vcc
	v_xor_b32_e32 v28, v28, v27
	v_sub_u32_e32 v27, v28, v27
	v_add3_u32 v11, v27, v12, v11
	v_rcp_f32_e32 v12, v30
	v_cvt_f32_i32_e32 v11, v11
	v_add_co_u32_e32 v8, vcc, s50, v8
	v_cvt_f16_f32_e32 v11, v11
	v_cvt_f32_f16_e32 v28, v11
	s_waitcnt vmcnt(0)
	v_cvt_f32_f16_e32 v27, v2
	v_mul_f32_e32 v29, v27, v12
	v_mad_f32 v31, -v30, v29, v27
	v_mac_f32_e32 v29, v31, v12
	v_mad_f32 v27, -v30, v29, v27
	v_mul_f32_e32 v12, v27, v12
	v_and_b32_e32 v12, 0xff800000, v12
	v_add_f32_e32 v12, v12, v29
	v_cvt_f16_f32_e32 v12, v12
	v_rcp_f32_e32 v27, v28
	v_mov_b32_e32 v29, s49
	v_addc_co_u32_e32 v9, vcc, v9, v29, vcc
	v_div_fixup_f16 v2, v12, v26, v2
	v_cvt_f32_f16_e32 v12, v2
	v_cmp_ge_i32_e32 vcc, v10, v22
	s_or_b64 s[26:27], vcc, s[26:27]
	v_mul_f32_e32 v30, v12, v27
	v_mad_f32 v31, -v28, v30, v12
	v_mac_f32_e32 v30, v31, v27
	v_mad_f32 v12, -v28, v30, v12
	v_mul_f32_e32 v12, v12, v27
	v_and_b32_e32 v12, 0xff800000, v12
	v_add_f32_e32 v12, v12, v30
	v_cvt_f16_f32_e32 v12, v12
	v_div_fixup_f16 v2, v12, v11, v2
	v_add_f16_e32 v25, v25, v2
	global_store_short v[6:7], v25, off
	s_andn2_b64 exec, exec, s[26:27]
	s_cbranch_execz .LBB17_16
.LBB17_24:                              ;   Parent Loop BB17_3 Depth=1
                                        ;     Parent Loop BB17_10 Depth=2
                                        ;       Parent Loop BB17_17 Depth=3
                                        ; =>      This Inner Loop Header: Depth=4
	v_or_b32_e32 v2, s46, v9
	v_cmp_ne_u64_e32 vcc, 0, v[1:2]
                                        ; implicit-def: $vgpr11_vgpr12
	s_and_saveexec_b64 s[6:7], vcc
	s_xor_b64 s[28:29], exec, s[6:7]
	s_cbranch_execz .LBB17_26
; %bb.25:                               ;   in Loop: Header=BB17_24 Depth=4
	s_ashr_i32 s30, s46, 31
	s_add_u32 s6, s48, s30
	s_mov_b32 s31, s30
	s_addc_u32 s7, s46, s30
	s_xor_b64 s[34:35], s[6:7], s[30:31]
	v_cvt_f32_u32_e32 v2, s34
	v_cvt_f32_u32_e32 v11, s35
	s_sub_u32 s15, 0, s34
	s_subb_u32 s31, 0, s35
	v_mac_f32_e32 v2, 0x4f800000, v11
	v_rcp_f32_e32 v2, v2
	v_mul_f32_e32 v2, 0x5f7ffffc, v2
	v_mul_f32_e32 v11, 0x2f800000, v2
	v_trunc_f32_e32 v11, v11
	v_mac_f32_e32 v2, 0xcf800000, v11
	v_cvt_u32_f32_e32 v11, v11
	v_cvt_u32_f32_e32 v2, v2
	v_readfirstlane_b32 s54, v11
	v_readfirstlane_b32 s6, v2
	s_mul_i32 s7, s15, s54
	s_mul_hi_u32 s56, s15, s6
	s_mul_i32 s55, s31, s6
	s_add_i32 s7, s56, s7
	s_add_i32 s7, s7, s55
	s_mul_i32 s57, s15, s6
	s_mul_i32 s56, s6, s7
	s_mul_hi_u32 s58, s6, s57
	s_mul_hi_u32 s55, s6, s7
	s_add_u32 s56, s58, s56
	s_addc_u32 s55, 0, s55
	s_mul_hi_u32 s59, s54, s57
	s_mul_i32 s57, s54, s57
	s_add_u32 s56, s56, s57
	s_mul_hi_u32 s58, s54, s7
	s_addc_u32 s55, s55, s59
	s_addc_u32 s56, s58, 0
	s_mul_i32 s7, s54, s7
	s_add_u32 s7, s55, s7
	s_addc_u32 s55, 0, s56
	s_add_u32 s56, s6, s7
	s_cselect_b64 s[6:7], -1, 0
	s_cmp_lg_u64 s[6:7], 0
	s_addc_u32 s54, s54, s55
	s_mul_i32 s6, s15, s54
	s_mul_hi_u32 s7, s15, s56
	s_add_i32 s6, s7, s6
	s_mul_i32 s31, s31, s56
	s_add_i32 s6, s6, s31
	s_mul_i32 s15, s15, s56
	s_mul_hi_u32 s31, s54, s15
	s_mul_i32 s55, s54, s15
	s_mul_i32 s58, s56, s6
	s_mul_hi_u32 s15, s56, s15
	s_mul_hi_u32 s57, s56, s6
	s_add_u32 s15, s15, s58
	s_addc_u32 s57, 0, s57
	s_add_u32 s15, s15, s55
	s_mul_hi_u32 s7, s54, s6
	s_addc_u32 s15, s57, s31
	s_addc_u32 s7, s7, 0
	s_mul_i32 s6, s54, s6
	s_add_u32 s6, s15, s6
	s_addc_u32 s15, 0, s7
	s_add_u32 s31, s56, s6
	s_cselect_b64 s[6:7], -1, 0
	v_ashrrev_i32_e32 v2, 31, v9
	s_cmp_lg_u64 s[6:7], 0
	v_add_co_u32_e32 v11, vcc, v8, v2
	s_addc_u32 s15, s54, s15
	v_xor_b32_e32 v29, v11, v2
	v_mad_u64_u32 v[11:12], s[6:7], v29, s15, 0
	v_mul_hi_u32 v28, v29, s31
	v_addc_co_u32_e32 v27, vcc, v9, v2, vcc
	v_xor_b32_e32 v30, v27, v2
	v_add_co_u32_e32 v31, vcc, v28, v11
	v_addc_co_u32_e32 v32, vcc, 0, v12, vcc
	v_mad_u64_u32 v[11:12], s[6:7], v30, s31, 0
	v_mad_u64_u32 v[27:28], s[6:7], v30, s15, 0
	v_add_co_u32_e32 v11, vcc, v31, v11
	v_addc_co_u32_e32 v11, vcc, v32, v12, vcc
	v_addc_co_u32_e32 v12, vcc, 0, v28, vcc
	v_add_co_u32_e32 v27, vcc, v11, v27
	v_addc_co_u32_e32 v11, vcc, 0, v12, vcc
	v_mul_lo_u32 v28, s35, v27
	v_mul_lo_u32 v31, s34, v11
	v_mad_u64_u32 v[11:12], s[6:7], s34, v27, 0
	v_xor_b32_e32 v2, s30, v2
	v_add3_u32 v12, v12, v31, v28
	v_sub_u32_e32 v28, v30, v12
	v_mov_b32_e32 v31, s35
	v_sub_co_u32_e32 v11, vcc, v29, v11
	v_subb_co_u32_e64 v28, s[6:7], v28, v31, vcc
	v_subrev_co_u32_e64 v29, s[6:7], s34, v11
	v_subbrev_co_u32_e64 v28, s[6:7], 0, v28, s[6:7]
	v_cmp_le_u32_e64 s[6:7], s35, v28
	v_subb_co_u32_e32 v12, vcc, v30, v12, vcc
	v_cndmask_b32_e64 v31, 0, -1, s[6:7]
	v_cmp_le_u32_e64 s[6:7], s34, v29
	v_cmp_le_u32_e32 vcc, s35, v12
	v_cndmask_b32_e64 v29, 0, -1, s[6:7]
	v_cmp_eq_u32_e64 s[6:7], s35, v28
	v_cndmask_b32_e64 v30, 0, -1, vcc
	v_cmp_le_u32_e32 vcc, s34, v11
	v_cndmask_b32_e64 v28, v31, v29, s[6:7]
	v_cndmask_b32_e64 v11, 0, -1, vcc
	v_cmp_eq_u32_e32 vcc, s35, v12
	v_add_co_u32_e64 v29, s[6:7], 2, v27
	v_add_co_u32_e64 v31, s[6:7], 1, v27
	v_cndmask_b32_e32 v11, v30, v11, vcc
	v_cmp_ne_u32_e32 vcc, 0, v28
	v_cndmask_b32_e32 v12, v31, v29, vcc
	v_cmp_ne_u32_e32 vcc, 0, v11
	v_cndmask_b32_e32 v11, v27, v12, vcc
	v_xor_b32_e32 v11, v11, v2
	v_sub_co_u32_e32 v11, vcc, v11, v2
.LBB17_26:                              ;   in Loop: Header=BB17_24 Depth=4
	s_andn2_saveexec_b64 s[6:7], s[28:29]
	s_cbranch_execz .LBB17_23
; %bb.27:                               ;   in Loop: Header=BB17_24 Depth=4
	v_cvt_f32_u32_e32 v2, s48
	s_sub_i32 s15, 0, s48
	v_rcp_iflag_f32_e32 v2, v2
	v_mul_f32_e32 v2, 0x4f7ffffe, v2
	v_cvt_u32_f32_e32 v2, v2
	v_mul_lo_u32 v11, s15, v2
	v_mul_hi_u32 v11, v2, v11
	v_add_u32_e32 v2, v2, v11
	v_mul_hi_u32 v2, v8, v2
	v_mul_lo_u32 v11, v2, s48
	v_add_u32_e32 v12, 1, v2
	v_sub_u32_e32 v11, v8, v11
	v_subrev_u32_e32 v27, s48, v11
	v_cmp_le_u32_e32 vcc, s48, v11
	v_cndmask_b32_e32 v11, v11, v27, vcc
	v_cndmask_b32_e32 v2, v2, v12, vcc
	v_add_u32_e32 v12, 1, v2
	v_cmp_le_u32_e32 vcc, s48, v11
	v_cndmask_b32_e32 v11, v2, v12, vcc
	s_branch .LBB17_23
.LBB17_28:
	s_endpgm
	.section	.rodata,"a",@progbits
	.p2align	6, 0x0
	.amdhsa_kernel _ZN2at6native12_GLOBAL__N_126adaptive_average_gradinputIN3c104HalfEEEvPT_PKS5_iiii
		.amdhsa_group_segment_fixed_size 0
		.amdhsa_private_segment_fixed_size 0
		.amdhsa_kernarg_size 288
		.amdhsa_user_sgpr_count 6
		.amdhsa_user_sgpr_private_segment_buffer 1
		.amdhsa_user_sgpr_dispatch_ptr 0
		.amdhsa_user_sgpr_queue_ptr 0
		.amdhsa_user_sgpr_kernarg_segment_ptr 1
		.amdhsa_user_sgpr_dispatch_id 0
		.amdhsa_user_sgpr_flat_scratch_init 0
		.amdhsa_user_sgpr_private_segment_size 0
		.amdhsa_uses_dynamic_stack 0
		.amdhsa_system_sgpr_private_segment_wavefront_offset 0
		.amdhsa_system_sgpr_workgroup_id_x 1
		.amdhsa_system_sgpr_workgroup_id_y 1
		.amdhsa_system_sgpr_workgroup_id_z 0
		.amdhsa_system_sgpr_workgroup_info 0
		.amdhsa_system_vgpr_workitem_id 1
		.amdhsa_next_free_vgpr 33
		.amdhsa_next_free_sgpr 60
		.amdhsa_reserve_vcc 1
		.amdhsa_reserve_flat_scratch 0
		.amdhsa_float_round_mode_32 0
		.amdhsa_float_round_mode_16_64 0
		.amdhsa_float_denorm_mode_32 3
		.amdhsa_float_denorm_mode_16_64 3
		.amdhsa_dx10_clamp 1
		.amdhsa_ieee_mode 1
		.amdhsa_fp16_overflow 0
		.amdhsa_exception_fp_ieee_invalid_op 0
		.amdhsa_exception_fp_denorm_src 0
		.amdhsa_exception_fp_ieee_div_zero 0
		.amdhsa_exception_fp_ieee_overflow 0
		.amdhsa_exception_fp_ieee_underflow 0
		.amdhsa_exception_fp_ieee_inexact 0
		.amdhsa_exception_int_div_zero 0
	.end_amdhsa_kernel
	.section	.text._ZN2at6native12_GLOBAL__N_126adaptive_average_gradinputIN3c104HalfEEEvPT_PKS5_iiii,"axG",@progbits,_ZN2at6native12_GLOBAL__N_126adaptive_average_gradinputIN3c104HalfEEEvPT_PKS5_iiii,comdat
.Lfunc_end17:
	.size	_ZN2at6native12_GLOBAL__N_126adaptive_average_gradinputIN3c104HalfEEEvPT_PKS5_iiii, .Lfunc_end17-_ZN2at6native12_GLOBAL__N_126adaptive_average_gradinputIN3c104HalfEEEvPT_PKS5_iiii
                                        ; -- End function
	.set _ZN2at6native12_GLOBAL__N_126adaptive_average_gradinputIN3c104HalfEEEvPT_PKS5_iiii.num_vgpr, 33
	.set _ZN2at6native12_GLOBAL__N_126adaptive_average_gradinputIN3c104HalfEEEvPT_PKS5_iiii.num_agpr, 0
	.set _ZN2at6native12_GLOBAL__N_126adaptive_average_gradinputIN3c104HalfEEEvPT_PKS5_iiii.numbered_sgpr, 60
	.set _ZN2at6native12_GLOBAL__N_126adaptive_average_gradinputIN3c104HalfEEEvPT_PKS5_iiii.num_named_barrier, 0
	.set _ZN2at6native12_GLOBAL__N_126adaptive_average_gradinputIN3c104HalfEEEvPT_PKS5_iiii.private_seg_size, 0
	.set _ZN2at6native12_GLOBAL__N_126adaptive_average_gradinputIN3c104HalfEEEvPT_PKS5_iiii.uses_vcc, 1
	.set _ZN2at6native12_GLOBAL__N_126adaptive_average_gradinputIN3c104HalfEEEvPT_PKS5_iiii.uses_flat_scratch, 0
	.set _ZN2at6native12_GLOBAL__N_126adaptive_average_gradinputIN3c104HalfEEEvPT_PKS5_iiii.has_dyn_sized_stack, 0
	.set _ZN2at6native12_GLOBAL__N_126adaptive_average_gradinputIN3c104HalfEEEvPT_PKS5_iiii.has_recursion, 0
	.set _ZN2at6native12_GLOBAL__N_126adaptive_average_gradinputIN3c104HalfEEEvPT_PKS5_iiii.has_indirect_call, 0
	.section	.AMDGPU.csdata,"",@progbits
; Kernel info:
; codeLenInByte = 4440
; TotalNumSgprs: 64
; NumVgprs: 33
; ScratchSize: 0
; MemoryBound: 0
; FloatMode: 240
; IeeeMode: 1
; LDSByteSize: 0 bytes/workgroup (compile time only)
; SGPRBlocks: 7
; VGPRBlocks: 8
; NumSGPRsForWavesPerEU: 64
; NumVGPRsForWavesPerEU: 33
; Occupancy: 7
; WaveLimiterHint : 0
; COMPUTE_PGM_RSRC2:SCRATCH_EN: 0
; COMPUTE_PGM_RSRC2:USER_SGPR: 6
; COMPUTE_PGM_RSRC2:TRAP_HANDLER: 0
; COMPUTE_PGM_RSRC2:TGID_X_EN: 1
; COMPUTE_PGM_RSRC2:TGID_Y_EN: 1
; COMPUTE_PGM_RSRC2:TGID_Z_EN: 0
; COMPUTE_PGM_RSRC2:TIDIG_COMP_CNT: 1
	.section	.text._ZN2at6native12_GLOBAL__N_133atomic_adaptive_average_gradinputIN3c108BFloat16EEEvPT_PKS5_iiii,"axG",@progbits,_ZN2at6native12_GLOBAL__N_133atomic_adaptive_average_gradinputIN3c108BFloat16EEEvPT_PKS5_iiii,comdat
	.globl	_ZN2at6native12_GLOBAL__N_133atomic_adaptive_average_gradinputIN3c108BFloat16EEEvPT_PKS5_iiii ; -- Begin function _ZN2at6native12_GLOBAL__N_133atomic_adaptive_average_gradinputIN3c108BFloat16EEEvPT_PKS5_iiii
	.p2align	8
	.type	_ZN2at6native12_GLOBAL__N_133atomic_adaptive_average_gradinputIN3c108BFloat16EEEvPT_PKS5_iiii,@function
_ZN2at6native12_GLOBAL__N_133atomic_adaptive_average_gradinputIN3c108BFloat16EEEvPT_PKS5_iiii: ; @_ZN2at6native12_GLOBAL__N_133atomic_adaptive_average_gradinputIN3c108BFloat16EEEvPT_PKS5_iiii
; %bb.0:
	s_load_dword s2, s[4:5], 0x2c
	s_load_dwordx4 s[8:11], s[4:5], 0x10
	s_add_u32 s0, s4, 32
	s_addc_u32 s1, s5, 0
	s_waitcnt lgkmcnt(0)
	s_lshr_b32 s3, s2, 16
	s_mul_i32 s7, s7, s3
	v_add_u32_e32 v8, s7, v1
	v_cmp_gt_i32_e32 vcc, s10, v8
	s_and_saveexec_b64 s[12:13], vcc
	s_cbranch_execz .LBB18_22
; %bb.1:
	s_load_dwordx4 s[12:15], s[4:5], 0x0
	s_mul_i32 s4, s10, s6
	s_mul_i32 s4, s4, s11
	s_ashr_i32 s5, s4, 31
	s_lshl_b64 s[4:5], s[4:5], 1
	s_waitcnt lgkmcnt(0)
	s_add_u32 s33, s14, s4
	s_mul_i32 s4, s8, s6
	s_mul_i32 s4, s4, s9
	s_addc_u32 s36, s15, s5
	s_ashr_i32 s5, s4, 31
	s_load_dword s39, s[0:1], 0x4
	s_lshl_b64 s[0:1], s[4:5], 1
	s_add_u32 s37, s12, s0
	s_addc_u32 s38, s13, s1
	s_abs_i32 s43, s10
	v_cvt_f32_u32_e32 v1, s43
	s_abs_i32 s44, s11
	v_cvt_f32_u32_e32 v2, s44
	s_and_b32 s40, s2, 0xffff
	v_rcp_iflag_f32_e32 v1, v1
	s_sub_i32 s2, 0, s43
	v_rcp_iflag_f32_e32 v2, v2
	s_ashr_i32 s41, s10, 31
	v_mul_f32_e32 v1, 0x4f7ffffe, v1
	v_cvt_u32_f32_e32 v1, v1
	v_mul_f32_e32 v2, 0x4f7ffffe, v2
	v_cvt_u32_f32_e32 v3, v2
	s_waitcnt lgkmcnt(0)
	s_mul_i32 s39, s39, s3
	v_mul_lo_u32 v2, s2, v1
	s_sub_i32 s2, 0, s44
	v_mul_lo_u32 v4, s2, v3
	s_mov_b32 s42, s10
	v_mul_hi_u32 v2, v1, v2
	v_cmp_gt_i32_e64 s[0:1], s11, v0
	v_mul_hi_u32 v4, v3, v4
	s_ashr_i32 s13, s9, 31
	s_mov_b32 s12, s9
	s_ashr_i32 s45, s11, 31
	s_mov_b32 s46, s11
	s_mov_b32 s15, 0
	v_add_u32_e32 v9, v1, v2
	v_mov_b32_e32 v2, 0
	v_add_u32_e32 v10, v3, v4
	s_mov_b64 s[16:17], 0
	s_movk_i32 s47, 0x7fff
	s_mov_b32 s48, 0xffff0000
	s_brev_b32 s49, -2
	s_ashr_i32 s18, s41, 31
	v_mov_b32_e32 v11, 0x7fc00000
	s_branch .LBB18_3
.LBB18_2:                               ;   in Loop: Header=BB18_3 Depth=1
	s_or_b64 exec, exec, s[20:21]
	v_add_u32_e32 v8, s39, v8
	v_cmp_le_i32_e32 vcc, s10, v8
	s_or_b64 s[16:17], vcc, s[16:17]
	s_andn2_b64 exec, exec, s[16:17]
	s_cbranch_execz .LBB18_22
.LBB18_3:                               ; =>This Loop Header: Depth=1
                                        ;     Child Loop BB18_10 Depth 2
                                        ;       Child Loop BB18_17 Depth 3
                                        ;         Child Loop BB18_19 Depth 4
                                        ;           Child Loop BB18_20 Depth 5
	v_add_u32_e32 v1, 1, v8
	v_mad_i64_i32 v[3:4], s[2:3], v1, s8, -1
	v_mov_b32_e32 v5, v2
	v_or_b32_e32 v6, s41, v4
	v_cmp_ne_u64_e32 vcc, 0, v[5:6]
                                        ; implicit-def: $vgpr5_vgpr6
	s_and_saveexec_b64 s[2:3], vcc
	s_xor_b64 s[4:5], exec, s[2:3]
	s_cbranch_execnz .LBB18_6
; %bb.4:                                ;   in Loop: Header=BB18_3 Depth=1
	s_andn2_saveexec_b64 s[2:3], s[4:5]
	s_cbranch_execnz .LBB18_7
.LBB18_5:                               ;   in Loop: Header=BB18_3 Depth=1
	s_or_b64 exec, exec, s[2:3]
	s_and_saveexec_b64 s[20:21], s[0:1]
	s_cbranch_execz .LBB18_2
	s_branch .LBB18_8
.LBB18_6:                               ;   in Loop: Header=BB18_3 Depth=1
	s_add_u32 s2, s42, s18
	s_mov_b32 s19, s18
	s_addc_u32 s3, s41, s18
	s_xor_b64 s[6:7], s[2:3], s[18:19]
	v_cvt_f32_u32_e32 v1, s6
	v_cvt_f32_u32_e32 v5, s7
	s_sub_u32 s14, 0, s6
	s_subb_u32 s19, 0, s7
	v_mac_f32_e32 v1, 0x4f800000, v5
	v_rcp_f32_e32 v1, v1
	v_mul_f32_e32 v1, 0x5f7ffffc, v1
	v_mul_f32_e32 v5, 0x2f800000, v1
	v_trunc_f32_e32 v5, v5
	v_mac_f32_e32 v1, 0xcf800000, v5
	v_cvt_u32_f32_e32 v5, v5
	v_cvt_u32_f32_e32 v1, v1
	v_readfirstlane_b32 s20, v5
	v_readfirstlane_b32 s2, v1
	s_mul_i32 s3, s14, s20
	s_mul_hi_u32 s22, s14, s2
	s_mul_i32 s21, s19, s2
	s_add_i32 s3, s22, s3
	s_add_i32 s3, s3, s21
	s_mul_i32 s23, s14, s2
	s_mul_i32 s22, s2, s3
	s_mul_hi_u32 s24, s2, s23
	s_mul_hi_u32 s21, s2, s3
	s_add_u32 s22, s24, s22
	s_addc_u32 s21, 0, s21
	s_mul_hi_u32 s25, s20, s23
	s_mul_i32 s23, s20, s23
	s_add_u32 s22, s22, s23
	s_mul_hi_u32 s24, s20, s3
	s_addc_u32 s21, s21, s25
	s_addc_u32 s22, s24, 0
	s_mul_i32 s3, s20, s3
	s_add_u32 s3, s21, s3
	s_addc_u32 s21, 0, s22
	s_add_u32 s22, s2, s3
	s_cselect_b64 s[2:3], -1, 0
	s_cmp_lg_u64 s[2:3], 0
	s_addc_u32 s20, s20, s21
	s_mul_i32 s2, s14, s20
	s_mul_hi_u32 s3, s14, s22
	s_add_i32 s2, s3, s2
	s_mul_i32 s19, s19, s22
	s_add_i32 s2, s2, s19
	s_mul_i32 s14, s14, s22
	s_mul_hi_u32 s19, s20, s14
	s_mul_i32 s21, s20, s14
	s_mul_i32 s24, s22, s2
	s_mul_hi_u32 s14, s22, s14
	s_mul_hi_u32 s23, s22, s2
	s_add_u32 s14, s14, s24
	s_addc_u32 s23, 0, s23
	s_add_u32 s14, s14, s21
	s_mul_hi_u32 s3, s20, s2
	s_addc_u32 s14, s23, s19
	s_addc_u32 s3, s3, 0
	s_mul_i32 s2, s20, s2
	s_add_u32 s2, s14, s2
	s_addc_u32 s14, 0, s3
	s_add_u32 s19, s22, s2
	s_cselect_b64 s[2:3], -1, 0
	v_ashrrev_i32_e32 v1, 31, v4
	s_cmp_lg_u64 s[2:3], 0
	v_add_co_u32_e32 v3, vcc, v3, v1
	s_addc_u32 s14, s20, s14
	v_xor_b32_e32 v7, v3, v1
	v_addc_co_u32_e32 v5, vcc, v4, v1, vcc
	v_mad_u64_u32 v[3:4], s[2:3], v7, s14, 0
	v_mul_hi_u32 v6, v7, s19
	v_xor_b32_e32 v12, v5, v1
	v_xor_b32_e32 v1, s18, v1
	v_add_co_u32_e32 v13, vcc, v6, v3
	v_addc_co_u32_e32 v14, vcc, 0, v4, vcc
	v_mad_u64_u32 v[3:4], s[2:3], v12, s19, 0
	v_mad_u64_u32 v[5:6], s[2:3], v12, s14, 0
	v_add_co_u32_e32 v3, vcc, v13, v3
	v_addc_co_u32_e32 v3, vcc, v14, v4, vcc
	v_addc_co_u32_e32 v4, vcc, 0, v6, vcc
	v_add_co_u32_e32 v5, vcc, v3, v5
	v_addc_co_u32_e32 v3, vcc, 0, v4, vcc
	v_mul_lo_u32 v6, s7, v5
	v_mul_lo_u32 v13, s6, v3
	v_mad_u64_u32 v[3:4], s[2:3], s6, v5, 0
	v_add3_u32 v4, v4, v13, v6
	v_sub_u32_e32 v6, v12, v4
	v_mov_b32_e32 v13, s7
	v_sub_co_u32_e32 v3, vcc, v7, v3
	v_subb_co_u32_e64 v6, s[2:3], v6, v13, vcc
	v_subrev_co_u32_e64 v7, s[2:3], s6, v3
	v_subbrev_co_u32_e64 v6, s[2:3], 0, v6, s[2:3]
	v_cmp_le_u32_e64 s[2:3], s7, v6
	v_subb_co_u32_e32 v4, vcc, v12, v4, vcc
	v_cndmask_b32_e64 v13, 0, -1, s[2:3]
	v_cmp_le_u32_e64 s[2:3], s6, v7
	v_cmp_le_u32_e32 vcc, s7, v4
	v_cndmask_b32_e64 v7, 0, -1, s[2:3]
	v_cmp_eq_u32_e64 s[2:3], s7, v6
	v_cndmask_b32_e64 v12, 0, -1, vcc
	v_cmp_le_u32_e32 vcc, s6, v3
	v_cndmask_b32_e64 v6, v13, v7, s[2:3]
	v_cndmask_b32_e64 v3, 0, -1, vcc
	v_cmp_eq_u32_e32 vcc, s7, v4
	v_add_co_u32_e64 v7, s[2:3], 2, v5
	v_add_co_u32_e64 v13, s[2:3], 1, v5
	v_cndmask_b32_e32 v3, v12, v3, vcc
	v_cmp_ne_u32_e32 vcc, 0, v6
	v_cndmask_b32_e32 v4, v13, v7, vcc
	v_cmp_ne_u32_e32 vcc, 0, v3
	v_cndmask_b32_e32 v3, v5, v4, vcc
	v_xor_b32_e32 v3, v3, v1
	v_sub_co_u32_e32 v5, vcc, v3, v1
                                        ; implicit-def: $vgpr3_vgpr4
	s_andn2_saveexec_b64 s[2:3], s[4:5]
	s_cbranch_execz .LBB18_5
.LBB18_7:                               ;   in Loop: Header=BB18_3 Depth=1
	v_cvt_f32_u32_e32 v1, s42
	s_sub_i32 s4, 0, s42
	v_rcp_iflag_f32_e32 v1, v1
	v_mul_f32_e32 v1, 0x4f7ffffe, v1
	v_cvt_u32_f32_e32 v1, v1
	v_mul_lo_u32 v4, s4, v1
	v_mul_hi_u32 v4, v1, v4
	v_add_u32_e32 v1, v1, v4
	v_mul_hi_u32 v1, v3, v1
	v_mul_lo_u32 v4, v1, s42
	v_add_u32_e32 v5, 1, v1
	v_sub_u32_e32 v3, v3, v4
	v_subrev_u32_e32 v4, s42, v3
	v_cmp_le_u32_e32 vcc, s42, v3
	v_cndmask_b32_e32 v3, v3, v4, vcc
	v_cndmask_b32_e32 v1, v1, v5, vcc
	v_add_u32_e32 v4, 1, v1
	v_cmp_le_u32_e32 vcc, s42, v3
	v_cndmask_b32_e32 v5, v1, v4, vcc
	s_or_b64 exec, exec, s[2:3]
	s_and_saveexec_b64 s[20:21], s[0:1]
	s_cbranch_execz .LBB18_2
.LBB18_8:                               ;   in Loop: Header=BB18_3 Depth=1
	v_sub_u32_e32 v1, 0, v8
	v_max_i32_e32 v1, v8, v1
	v_mul_hi_u32 v3, v1, v9
	v_ashrrev_i32_e32 v6, 31, v8
	v_xor_b32_e32 v6, s41, v6
	s_mov_b64 s[22:23], 0
	v_mul_lo_u32 v4, v3, s43
	v_add_u32_e32 v7, 1, v3
	v_sub_u32_e32 v1, v1, v4
	v_cmp_le_u32_e32 vcc, s43, v1
	v_subrev_u32_e32 v4, s43, v1
	v_cndmask_b32_e32 v3, v3, v7, vcc
	v_cndmask_b32_e32 v1, v1, v4, vcc
	v_add_u32_e32 v4, 1, v3
	v_cmp_le_u32_e32 vcc, s43, v1
	v_cndmask_b32_e32 v1, v3, v4, vcc
	v_xor_b32_e32 v1, v1, v6
	v_sub_u32_e32 v4, v1, v6
	v_mul_lo_u32 v1, v4, s10
	v_sub_u32_e32 v1, v8, v1
	v_mul_lo_u32 v1, v1, s8
	v_sub_u32_e32 v3, 0, v1
	v_max_i32_e32 v6, v1, v3
	v_mul_hi_u32 v7, v6, v9
	v_ashrrev_i32_e32 v1, 31, v1
	v_xor_b32_e32 v1, s41, v1
	v_mul_lo_u32 v3, v8, s11
	v_mul_lo_u32 v12, v7, s43
	v_add_u32_e32 v13, 1, v7
	v_sub_u32_e32 v6, v6, v12
	v_cmp_le_u32_e32 vcc, s43, v6
	v_subrev_u32_e32 v12, s43, v6
	v_cndmask_b32_e32 v7, v7, v13, vcc
	v_cndmask_b32_e32 v6, v6, v12, vcc
	v_add_u32_e32 v12, 1, v7
	v_cmp_le_u32_e32 vcc, s43, v6
	v_cndmask_b32_e32 v6, v7, v12, vcc
	v_xor_b32_e32 v6, v6, v1
	v_sub_u32_e32 v1, v6, v1
	v_mad_u64_u32 v[6:7], s[2:3], v4, s8, v[1:2]
	v_mov_b32_e32 v1, s38
	v_ashrrev_i32_e32 v4, 31, v3
	v_mul_lo_u32 v13, v6, s9
	v_sub_u32_e32 v12, v5, v6
	v_add_u32_e32 v15, 1, v12
	v_lshlrev_b64 v[3:4], 1, v[3:4]
	v_ashrrev_i32_e32 v14, 31, v13
	v_lshlrev_b64 v[5:6], 1, v[13:14]
	v_mov_b32_e32 v7, s36
	v_add_co_u32_e32 v13, vcc, s37, v5
	v_addc_co_u32_e32 v14, vcc, v1, v6, vcc
	v_cvt_f32_i32_e32 v1, v15
	v_add_co_u32_e32 v15, vcc, s33, v3
	v_addc_co_u32_e32 v16, vcc, v7, v4, vcc
	v_bfe_u32 v3, v1, 16, 1
	v_add3_u32 v1, v1, v3, s47
	v_and_b32_e32 v17, 0xffff0000, v1
	v_cmp_gt_u32_e64 s[2:3], s49, v12
	v_mov_b32_e32 v3, v0
	s_branch .LBB18_10
.LBB18_9:                               ;   in Loop: Header=BB18_10 Depth=2
	s_or_b64 exec, exec, s[24:25]
	v_add_u32_e32 v3, s40, v3
	v_cmp_le_i32_e32 vcc, s11, v3
	s_or_b64 s[22:23], vcc, s[22:23]
	s_andn2_b64 exec, exec, s[22:23]
	s_cbranch_execz .LBB18_2
.LBB18_10:                              ;   Parent Loop BB18_3 Depth=1
                                        ; =>  This Loop Header: Depth=2
                                        ;       Child Loop BB18_17 Depth 3
                                        ;         Child Loop BB18_19 Depth 4
                                        ;           Child Loop BB18_20 Depth 5
	v_add_u32_e32 v6, 1, v3
	v_mad_u64_u32 v[4:5], s[4:5], v6, s12, -1
	v_mov_b32_e32 v1, v5
	v_mad_u64_u32 v[5:6], s[4:5], v6, s13, v[1:2]
	v_mov_b32_e32 v6, v2
	v_or_b32_e32 v7, s45, v5
	v_cmp_ne_u64_e32 vcc, 0, v[6:7]
	v_mov_b32_e32 v1, v5
                                        ; implicit-def: $vgpr6_vgpr7
	s_and_saveexec_b64 s[4:5], vcc
	s_xor_b64 s[6:7], exec, s[4:5]
	s_cbranch_execnz .LBB18_13
; %bb.11:                               ;   in Loop: Header=BB18_10 Depth=2
	s_andn2_saveexec_b64 s[4:5], s[6:7]
	s_cbranch_execnz .LBB18_14
.LBB18_12:                              ;   in Loop: Header=BB18_10 Depth=2
	s_or_b64 exec, exec, s[4:5]
	v_mov_b32_e32 v4, v2
	s_and_saveexec_b64 s[24:25], s[2:3]
	s_cbranch_execz .LBB18_9
	s_branch .LBB18_15
.LBB18_13:                              ;   in Loop: Header=BB18_10 Depth=2
	s_ashr_i32 s24, s45, 31
	s_add_u32 s4, s46, s24
	s_mov_b32 s25, s24
	s_addc_u32 s5, s45, s24
	s_xor_b64 s[26:27], s[4:5], s[24:25]
	v_cvt_f32_u32_e32 v5, s26
	v_cvt_f32_u32_e32 v6, s27
	s_sub_u32 s14, 0, s26
	s_subb_u32 s19, 0, s27
	v_ashrrev_i32_e32 v18, 31, v1
	v_mac_f32_e32 v5, 0x4f800000, v6
	v_rcp_f32_e32 v5, v5
	v_add_co_u32_e32 v4, vcc, v4, v18
	v_xor_b32_e32 v19, v4, v18
	v_mul_f32_e32 v5, 0x5f7ffffc, v5
	v_mul_f32_e32 v6, 0x2f800000, v5
	v_trunc_f32_e32 v6, v6
	v_mac_f32_e32 v5, 0xcf800000, v6
	v_cvt_u32_f32_e32 v6, v6
	v_cvt_u32_f32_e32 v5, v5
	v_addc_co_u32_e32 v1, vcc, v1, v18, vcc
	v_readfirstlane_b32 s25, v6
	v_readfirstlane_b32 s4, v5
	s_mul_i32 s5, s14, s25
	s_mul_hi_u32 s29, s14, s4
	s_mul_i32 s28, s19, s4
	s_add_i32 s5, s29, s5
	s_add_i32 s5, s5, s28
	s_mul_i32 s30, s14, s4
	s_mul_i32 s29, s4, s5
	s_mul_hi_u32 s31, s4, s30
	s_mul_hi_u32 s28, s4, s5
	s_add_u32 s29, s31, s29
	s_addc_u32 s28, 0, s28
	s_mul_hi_u32 s34, s25, s30
	s_mul_i32 s30, s25, s30
	s_add_u32 s29, s29, s30
	s_mul_hi_u32 s31, s25, s5
	s_addc_u32 s28, s28, s34
	s_addc_u32 s29, s31, 0
	s_mul_i32 s5, s25, s5
	s_add_u32 s5, s28, s5
	s_addc_u32 s28, 0, s29
	s_add_u32 s29, s4, s5
	s_cselect_b64 s[4:5], -1, 0
	s_cmp_lg_u64 s[4:5], 0
	s_addc_u32 s25, s25, s28
	s_mul_i32 s4, s14, s25
	s_mul_hi_u32 s5, s14, s29
	s_add_i32 s4, s5, s4
	s_mul_i32 s19, s19, s29
	s_add_i32 s4, s4, s19
	s_mul_i32 s14, s14, s29
	s_mul_hi_u32 s19, s25, s14
	s_mul_i32 s28, s25, s14
	s_mul_i32 s31, s29, s4
	s_mul_hi_u32 s14, s29, s14
	s_mul_hi_u32 s30, s29, s4
	s_add_u32 s14, s14, s31
	s_addc_u32 s30, 0, s30
	s_add_u32 s14, s14, s28
	s_mul_hi_u32 s5, s25, s4
	s_addc_u32 s14, s30, s19
	s_addc_u32 s5, s5, 0
	s_mul_i32 s4, s25, s4
	s_add_u32 s4, s14, s4
	s_addc_u32 s14, 0, s5
	s_add_u32 s19, s29, s4
	s_cselect_b64 s[4:5], -1, 0
	s_cmp_lg_u64 s[4:5], 0
	s_addc_u32 s14, s25, s14
	v_mad_u64_u32 v[4:5], s[4:5], v19, s14, 0
	v_mul_hi_u32 v6, v19, s19
	v_xor_b32_e32 v1, v1, v18
	v_add_co_u32_e32 v20, vcc, v6, v4
	v_addc_co_u32_e32 v21, vcc, 0, v5, vcc
	v_mad_u64_u32 v[4:5], s[4:5], v1, s19, 0
	v_mad_u64_u32 v[6:7], s[4:5], v1, s14, 0
	v_add_co_u32_e32 v4, vcc, v20, v4
	v_addc_co_u32_e32 v4, vcc, v21, v5, vcc
	v_addc_co_u32_e32 v5, vcc, 0, v7, vcc
	v_add_co_u32_e32 v6, vcc, v4, v6
	v_addc_co_u32_e32 v4, vcc, 0, v5, vcc
	v_mul_lo_u32 v7, s27, v6
	v_mul_lo_u32 v20, s26, v4
	v_mad_u64_u32 v[4:5], s[4:5], s26, v6, 0
	v_add3_u32 v5, v5, v20, v7
	v_sub_u32_e32 v7, v1, v5
	v_mov_b32_e32 v20, s27
	v_sub_co_u32_e32 v4, vcc, v19, v4
	v_subb_co_u32_e64 v7, s[4:5], v7, v20, vcc
	v_subrev_co_u32_e64 v19, s[4:5], s26, v4
	v_subbrev_co_u32_e64 v7, s[4:5], 0, v7, s[4:5]
	v_cmp_le_u32_e64 s[4:5], s27, v7
	v_subb_co_u32_e32 v1, vcc, v1, v5, vcc
	v_cndmask_b32_e64 v20, 0, -1, s[4:5]
	v_cmp_le_u32_e64 s[4:5], s26, v19
	v_cmp_le_u32_e32 vcc, s27, v1
	v_cndmask_b32_e64 v19, 0, -1, s[4:5]
	v_cmp_eq_u32_e64 s[4:5], s27, v7
	v_cndmask_b32_e64 v5, 0, -1, vcc
	v_cmp_le_u32_e32 vcc, s26, v4
	v_cndmask_b32_e64 v7, v20, v19, s[4:5]
	v_cndmask_b32_e64 v4, 0, -1, vcc
	v_cmp_eq_u32_e32 vcc, s27, v1
	v_add_co_u32_e64 v19, s[4:5], 2, v6
	v_add_co_u32_e64 v20, s[4:5], 1, v6
	v_cndmask_b32_e32 v1, v5, v4, vcc
	v_cmp_ne_u32_e32 vcc, 0, v7
	v_cndmask_b32_e32 v4, v20, v19, vcc
	v_cmp_ne_u32_e32 vcc, 0, v1
	v_cndmask_b32_e32 v1, v6, v4, vcc
	v_xor_b32_e32 v4, s24, v18
	v_xor_b32_e32 v1, v1, v4
	v_sub_co_u32_e32 v6, vcc, v1, v4
                                        ; implicit-def: $vgpr4_vgpr5
	s_andn2_saveexec_b64 s[4:5], s[6:7]
	s_cbranch_execz .LBB18_12
.LBB18_14:                              ;   in Loop: Header=BB18_10 Depth=2
	v_cvt_f32_u32_e32 v1, s46
	s_sub_i32 s6, 0, s46
	v_rcp_iflag_f32_e32 v1, v1
	v_mul_f32_e32 v1, 0x4f7ffffe, v1
	v_cvt_u32_f32_e32 v1, v1
	v_mul_lo_u32 v5, s6, v1
	v_mul_hi_u32 v5, v1, v5
	v_add_u32_e32 v1, v1, v5
	v_mul_hi_u32 v1, v4, v1
	v_mul_lo_u32 v5, v1, s46
	v_add_u32_e32 v6, 1, v1
	v_sub_u32_e32 v4, v4, v5
	v_subrev_u32_e32 v5, s46, v4
	v_cmp_le_u32_e32 vcc, s46, v4
	v_cndmask_b32_e32 v4, v4, v5, vcc
	v_cndmask_b32_e32 v1, v1, v6, vcc
	v_add_u32_e32 v5, 1, v1
	v_cmp_le_u32_e32 vcc, s46, v4
	v_cndmask_b32_e32 v6, v1, v5, vcc
	s_or_b64 exec, exec, s[4:5]
	v_mov_b32_e32 v4, v2
	s_and_saveexec_b64 s[24:25], s[2:3]
	s_cbranch_execz .LBB18_9
.LBB18_15:                              ;   in Loop: Header=BB18_10 Depth=2
	v_lshlrev_b64 v[4:5], 1, v[3:4]
	v_mul_hi_u32 v1, v3, v10
	v_add_co_u32_e32 v4, vcc, v15, v4
	v_addc_co_u32_e32 v5, vcc, v16, v5, vcc
	global_load_ushort v7, v[4:5], off
	v_mul_lo_u32 v4, v3, s9
	v_mul_lo_u32 v5, v1, s44
	v_add_u32_e32 v18, 1, v1
	s_mov_b32 s19, 0
	v_sub_u32_e32 v20, 0, v4
	v_ashrrev_i32_e32 v19, 31, v4
	v_max_i32_e32 v4, v4, v20
	v_mul_hi_u32 v20, v4, v10
	v_sub_u32_e32 v5, v3, v5
	v_cmp_le_u32_e32 vcc, s44, v5
	v_cndmask_b32_e32 v1, v1, v18, vcc
	v_subrev_u32_e32 v18, s44, v5
	v_cndmask_b32_e32 v5, v5, v18, vcc
	v_mul_lo_u32 v21, v20, s44
	v_add_u32_e32 v18, 1, v1
	v_cmp_le_u32_e32 vcc, s44, v5
	v_cndmask_b32_e32 v1, v1, v18, vcc
	v_xor_b32_e32 v1, s45, v1
	v_subrev_u32_e32 v5, s45, v1
	v_sub_u32_e32 v1, v4, v21
	v_add_u32_e32 v22, 1, v20
	v_cmp_le_u32_e32 vcc, s44, v1
	v_subrev_u32_e32 v18, s44, v1
	v_cndmask_b32_e32 v4, v20, v22, vcc
	v_cndmask_b32_e32 v1, v1, v18, vcc
	v_add_u32_e32 v18, 1, v4
	v_cmp_le_u32_e32 vcc, s44, v1
	v_xor_b32_e32 v19, s45, v19
	v_cndmask_b32_e32 v1, v4, v18, vcc
	v_xor_b32_e32 v1, v1, v19
	v_sub_u32_e32 v1, v1, v19
	v_mad_u64_u32 v[4:5], s[4:5], v5, s9, v[1:2]
	s_mov_b64 s[26:27], 0
	v_sub_u32_e32 v18, v6, v4
	v_add_u32_e32 v1, 1, v18
	v_cvt_f32_i32_e32 v1, v1
	v_bfe_u32 v5, v1, 16, 1
	v_add3_u32 v1, v1, v5, s47
	v_and_b32_e32 v1, 0xffff0000, v1
	s_waitcnt vmcnt(0)
	v_lshlrev_b32_e32 v5, 16, v7
	v_div_scale_f32 v6, s[4:5], v1, v1, v5
	v_div_scale_f32 v7, vcc, v5, v1, v5
	v_rcp_f32_e32 v19, v6
	v_fma_f32 v20, -v6, v19, 1.0
	v_fmac_f32_e32 v19, v20, v19
	v_mul_f32_e32 v20, v7, v19
	v_fma_f32 v21, -v6, v20, v7
	v_fmac_f32_e32 v20, v21, v19
	v_fma_f32 v6, -v6, v20, v7
	v_div_fmas_f32 v6, v6, v19, v20
	v_div_fixup_f32 v1, v6, v1, v5
	v_bfe_u32 v5, v1, 16, 1
	v_add3_u32 v5, v1, v5, s47
	v_and_b32_e32 v5, 0xffff0000, v5
	v_cmp_o_f32_e32 vcc, v1, v1
	v_cndmask_b32_e32 v1, v11, v5, vcc
	v_div_scale_f32 v5, s[4:5], v17, v17, v1
	v_div_scale_f32 v6, vcc, v1, v17, v1
	v_cmp_gt_u32_e64 s[4:5], s49, v18
	v_rcp_f32_e32 v7, v5
	v_fma_f32 v19, -v5, v7, 1.0
	v_fmac_f32_e32 v7, v19, v7
	v_mul_f32_e32 v19, v6, v7
	v_fma_f32 v20, -v5, v19, v6
	v_fmac_f32_e32 v19, v20, v7
	v_fma_f32 v5, -v5, v19, v6
	v_div_fmas_f32 v6, v5, v7, v19
	v_ashrrev_i32_e32 v5, 31, v4
	v_lshlrev_b64 v[4:5], 1, v[4:5]
	v_add_co_u32_e32 v19, vcc, v13, v4
	v_addc_co_u32_e32 v20, vcc, v14, v5, vcc
	v_div_fixup_f32 v1, v6, v17, v1
	v_bfe_u32 v4, v1, 16, 1
	v_add3_u32 v4, v1, v4, s47
	v_and_b32_e32 v4, 0xffff0000, v4
	v_cmp_o_f32_e32 vcc, v1, v1
	v_cndmask_b32_e32 v21, v11, v4, vcc
	s_branch .LBB18_17
.LBB18_16:                              ;   in Loop: Header=BB18_17 Depth=3
	s_or_b64 exec, exec, s[28:29]
	s_lshl_b64 s[6:7], s[12:13], 1
	v_mov_b32_e32 v1, s7
	v_add_co_u32_e32 v19, vcc, s6, v19
	v_addc_co_u32_e32 v20, vcc, v20, v1, vcc
	s_add_i32 s6, s19, 1
	v_cmp_eq_u32_e32 vcc, s19, v12
	s_or_b64 s[26:27], vcc, s[26:27]
	s_mov_b32 s19, s6
	s_andn2_b64 exec, exec, s[26:27]
	s_cbranch_execz .LBB18_9
.LBB18_17:                              ;   Parent Loop BB18_3 Depth=1
                                        ;     Parent Loop BB18_10 Depth=2
                                        ; =>    This Loop Header: Depth=3
                                        ;         Child Loop BB18_19 Depth 4
                                        ;           Child Loop BB18_20 Depth 5
	s_and_saveexec_b64 s[28:29], s[4:5]
	s_cbranch_execz .LBB18_16
; %bb.18:                               ;   in Loop: Header=BB18_17 Depth=3
	s_mov_b32 s14, 0
	s_mov_b64 s[30:31], 0
.LBB18_19:                              ;   Parent Loop BB18_3 Depth=1
                                        ;     Parent Loop BB18_10 Depth=2
                                        ;       Parent Loop BB18_17 Depth=3
                                        ; =>      This Loop Header: Depth=4
                                        ;           Child Loop BB18_20 Depth 5
	s_lshl_b64 s[6:7], s[14:15], 1
	v_mov_b32_e32 v1, s7
	v_add_co_u32_e32 v4, vcc, s6, v19
	v_addc_co_u32_e32 v5, vcc, v20, v1, vcc
	v_and_b32_e32 v1, 2, v4
	v_sub_co_u32_e32 v6, vcc, 0, v1
	v_subb_co_u32_e64 v7, s[6:7], 0, 0, vcc
	v_add_co_u32_e32 v4, vcc, v4, v6
	v_addc_co_u32_e32 v5, vcc, v5, v7, vcc
	global_load_dword v7, v[4:5], off
	v_cmp_eq_u64_e64 s[6:7], 0, v[1:2]
	s_mov_b64 s[34:35], 0
.LBB18_20:                              ;   Parent Loop BB18_3 Depth=1
                                        ;     Parent Loop BB18_10 Depth=2
                                        ;       Parent Loop BB18_17 Depth=3
                                        ;         Parent Loop BB18_19 Depth=4
                                        ; =>        This Inner Loop Header: Depth=5
	s_mov_b64 vcc, s[6:7]
	s_waitcnt vmcnt(0)
	v_and_b32_e32 v1, 0xffff, v7
	v_cndmask_b32_sdwa v6, v7, v1, vcc dst_sel:WORD_1 dst_unused:UNUSED_PAD src0_sel:WORD_1 src1_sel:DWORD
	v_add_f32_e32 v6, v21, v6
	v_bfe_u32 v22, v6, 16, 1
	v_cmp_o_f32_e32 vcc, v6, v6
	v_add3_u32 v6, v6, v22, s47
	v_mov_b32_e32 v22, 0x7fc0
	v_cndmask_b32_sdwa v6, v22, v6, vcc dst_sel:DWORD dst_unused:UNUSED_PAD src0_sel:DWORD src1_sel:WORD_1
	v_lshl_or_b32 v1, v6, 16, v1
	v_and_or_b32 v6, v7, s48, v6
	v_cndmask_b32_e64 v6, v1, v6, s[6:7]
	global_atomic_cmpswap v1, v[4:5], v[6:7], off glc
	s_waitcnt vmcnt(0)
	v_cmp_eq_u32_e32 vcc, v7, v1
	s_or_b64 s[34:35], vcc, s[34:35]
	v_mov_b32_e32 v7, v1
	s_andn2_b64 exec, exec, s[34:35]
	s_cbranch_execnz .LBB18_20
; %bb.21:                               ;   in Loop: Header=BB18_19 Depth=4
	s_or_b64 exec, exec, s[34:35]
	s_add_i32 s6, s14, 1
	v_cmp_eq_u32_e32 vcc, s14, v18
	s_or_b64 s[30:31], vcc, s[30:31]
	s_mov_b32 s14, s6
	s_andn2_b64 exec, exec, s[30:31]
	s_cbranch_execnz .LBB18_19
	s_branch .LBB18_16
.LBB18_22:
	s_endpgm
	.section	.rodata,"a",@progbits
	.p2align	6, 0x0
	.amdhsa_kernel _ZN2at6native12_GLOBAL__N_133atomic_adaptive_average_gradinputIN3c108BFloat16EEEvPT_PKS5_iiii
		.amdhsa_group_segment_fixed_size 0
		.amdhsa_private_segment_fixed_size 0
		.amdhsa_kernarg_size 288
		.amdhsa_user_sgpr_count 6
		.amdhsa_user_sgpr_private_segment_buffer 1
		.amdhsa_user_sgpr_dispatch_ptr 0
		.amdhsa_user_sgpr_queue_ptr 0
		.amdhsa_user_sgpr_kernarg_segment_ptr 1
		.amdhsa_user_sgpr_dispatch_id 0
		.amdhsa_user_sgpr_flat_scratch_init 0
		.amdhsa_user_sgpr_private_segment_size 0
		.amdhsa_uses_dynamic_stack 0
		.amdhsa_system_sgpr_private_segment_wavefront_offset 0
		.amdhsa_system_sgpr_workgroup_id_x 1
		.amdhsa_system_sgpr_workgroup_id_y 1
		.amdhsa_system_sgpr_workgroup_id_z 0
		.amdhsa_system_sgpr_workgroup_info 0
		.amdhsa_system_vgpr_workitem_id 1
		.amdhsa_next_free_vgpr 23
		.amdhsa_next_free_sgpr 50
		.amdhsa_reserve_vcc 1
		.amdhsa_reserve_flat_scratch 0
		.amdhsa_float_round_mode_32 0
		.amdhsa_float_round_mode_16_64 0
		.amdhsa_float_denorm_mode_32 3
		.amdhsa_float_denorm_mode_16_64 3
		.amdhsa_dx10_clamp 1
		.amdhsa_ieee_mode 1
		.amdhsa_fp16_overflow 0
		.amdhsa_exception_fp_ieee_invalid_op 0
		.amdhsa_exception_fp_denorm_src 0
		.amdhsa_exception_fp_ieee_div_zero 0
		.amdhsa_exception_fp_ieee_overflow 0
		.amdhsa_exception_fp_ieee_underflow 0
		.amdhsa_exception_fp_ieee_inexact 0
		.amdhsa_exception_int_div_zero 0
	.end_amdhsa_kernel
	.section	.text._ZN2at6native12_GLOBAL__N_133atomic_adaptive_average_gradinputIN3c108BFloat16EEEvPT_PKS5_iiii,"axG",@progbits,_ZN2at6native12_GLOBAL__N_133atomic_adaptive_average_gradinputIN3c108BFloat16EEEvPT_PKS5_iiii,comdat
.Lfunc_end18:
	.size	_ZN2at6native12_GLOBAL__N_133atomic_adaptive_average_gradinputIN3c108BFloat16EEEvPT_PKS5_iiii, .Lfunc_end18-_ZN2at6native12_GLOBAL__N_133atomic_adaptive_average_gradinputIN3c108BFloat16EEEvPT_PKS5_iiii
                                        ; -- End function
	.set _ZN2at6native12_GLOBAL__N_133atomic_adaptive_average_gradinputIN3c108BFloat16EEEvPT_PKS5_iiii.num_vgpr, 23
	.set _ZN2at6native12_GLOBAL__N_133atomic_adaptive_average_gradinputIN3c108BFloat16EEEvPT_PKS5_iiii.num_agpr, 0
	.set _ZN2at6native12_GLOBAL__N_133atomic_adaptive_average_gradinputIN3c108BFloat16EEEvPT_PKS5_iiii.numbered_sgpr, 50
	.set _ZN2at6native12_GLOBAL__N_133atomic_adaptive_average_gradinputIN3c108BFloat16EEEvPT_PKS5_iiii.num_named_barrier, 0
	.set _ZN2at6native12_GLOBAL__N_133atomic_adaptive_average_gradinputIN3c108BFloat16EEEvPT_PKS5_iiii.private_seg_size, 0
	.set _ZN2at6native12_GLOBAL__N_133atomic_adaptive_average_gradinputIN3c108BFloat16EEEvPT_PKS5_iiii.uses_vcc, 1
	.set _ZN2at6native12_GLOBAL__N_133atomic_adaptive_average_gradinputIN3c108BFloat16EEEvPT_PKS5_iiii.uses_flat_scratch, 0
	.set _ZN2at6native12_GLOBAL__N_133atomic_adaptive_average_gradinputIN3c108BFloat16EEEvPT_PKS5_iiii.has_dyn_sized_stack, 0
	.set _ZN2at6native12_GLOBAL__N_133atomic_adaptive_average_gradinputIN3c108BFloat16EEEvPT_PKS5_iiii.has_recursion, 0
	.set _ZN2at6native12_GLOBAL__N_133atomic_adaptive_average_gradinputIN3c108BFloat16EEEvPT_PKS5_iiii.has_indirect_call, 0
	.section	.AMDGPU.csdata,"",@progbits
; Kernel info:
; codeLenInByte = 2892
; TotalNumSgprs: 54
; NumVgprs: 23
; ScratchSize: 0
; MemoryBound: 0
; FloatMode: 240
; IeeeMode: 1
; LDSByteSize: 0 bytes/workgroup (compile time only)
; SGPRBlocks: 6
; VGPRBlocks: 5
; NumSGPRsForWavesPerEU: 54
; NumVGPRsForWavesPerEU: 23
; Occupancy: 10
; WaveLimiterHint : 0
; COMPUTE_PGM_RSRC2:SCRATCH_EN: 0
; COMPUTE_PGM_RSRC2:USER_SGPR: 6
; COMPUTE_PGM_RSRC2:TRAP_HANDLER: 0
; COMPUTE_PGM_RSRC2:TGID_X_EN: 1
; COMPUTE_PGM_RSRC2:TGID_Y_EN: 1
; COMPUTE_PGM_RSRC2:TGID_Z_EN: 0
; COMPUTE_PGM_RSRC2:TIDIG_COMP_CNT: 1
	.section	.text._ZN2at6native12_GLOBAL__N_126adaptive_average_gradinputIN3c108BFloat16EEEvPT_PKS5_iiii,"axG",@progbits,_ZN2at6native12_GLOBAL__N_126adaptive_average_gradinputIN3c108BFloat16EEEvPT_PKS5_iiii,comdat
	.globl	_ZN2at6native12_GLOBAL__N_126adaptive_average_gradinputIN3c108BFloat16EEEvPT_PKS5_iiii ; -- Begin function _ZN2at6native12_GLOBAL__N_126adaptive_average_gradinputIN3c108BFloat16EEEvPT_PKS5_iiii
	.p2align	8
	.type	_ZN2at6native12_GLOBAL__N_126adaptive_average_gradinputIN3c108BFloat16EEEvPT_PKS5_iiii,@function
_ZN2at6native12_GLOBAL__N_126adaptive_average_gradinputIN3c108BFloat16EEEvPT_PKS5_iiii: ; @_ZN2at6native12_GLOBAL__N_126adaptive_average_gradinputIN3c108BFloat16EEEvPT_PKS5_iiii
; %bb.0:
	s_load_dword s2, s[4:5], 0x2c
	s_load_dwordx4 s[8:11], s[4:5], 0x10
	s_add_u32 s0, s4, 32
	s_addc_u32 s1, s5, 0
	s_waitcnt lgkmcnt(0)
	s_lshr_b32 s3, s2, 16
	s_mul_i32 s7, s7, s3
	v_add_u32_e32 v13, s7, v1
	v_cmp_gt_i32_e32 vcc, s8, v13
	s_and_saveexec_b64 s[12:13], vcc
	s_cbranch_execz .LBB19_28
; %bb.1:
	s_load_dwordx4 s[12:15], s[4:5], 0x0
	s_mul_i32 s4, s10, s6
	s_mul_i32 s4, s4, s11
	s_ashr_i32 s5, s4, 31
	s_lshl_b64 s[4:5], s[4:5], 1
	s_waitcnt lgkmcnt(0)
	s_add_u32 s33, s14, s4
	s_mul_i32 s4, s8, s6
	s_mul_i32 s4, s4, s9
	s_addc_u32 s36, s15, s5
	s_ashr_i32 s5, s4, 31
	s_load_dword s39, s[0:1], 0x4
	s_lshl_b64 s[0:1], s[4:5], 1
	s_add_u32 s37, s12, s0
	s_addc_u32 s38, s13, s1
	s_abs_i32 s41, s8
	v_cvt_f32_u32_e32 v1, s41
	s_abs_i32 s47, s9
	v_cvt_f32_u32_e32 v2, s47
	;; [unrolled: 2-line block ×3, first 2 shown]
	s_abs_i32 s52, s11
	v_rcp_iflag_f32_e32 v1, v1
	v_cvt_f32_u32_e32 v5, s52
	v_rcp_iflag_f32_e32 v2, v2
	v_rcp_iflag_f32_e32 v4, v4
	v_mul_f32_e32 v1, 0x4f7ffffe, v1
	v_rcp_iflag_f32_e32 v5, v5
	v_cvt_u32_f32_e32 v1, v1
	v_mul_f32_e32 v2, 0x4f7ffffe, v2
	v_cvt_u32_f32_e32 v2, v2
	v_mul_f32_e32 v4, 0x4f7ffffe, v4
	s_and_b32 s40, s2, 0xffff
	s_sub_i32 s2, 0, s41
	v_cvt_u32_f32_e32 v4, v4
	v_mul_f32_e32 v5, 0x4f7ffffe, v5
	v_mul_lo_u32 v3, s2, v1
	v_cvt_u32_f32_e32 v5, v5
	s_sub_i32 s2, 0, s47
	v_mul_lo_u32 v6, s2, v2
	s_sub_i32 s2, 0, s51
	v_mul_lo_u32 v7, s2, v4
	s_sub_i32 s2, 0, s52
	v_mul_hi_u32 v3, v1, v3
	v_mul_lo_u32 v8, s2, v5
	s_ashr_i32 s44, s8, 31
	s_waitcnt lgkmcnt(0)
	s_mul_i32 s39, s39, s3
	v_add_u32_e32 v14, v1, v3
	v_mul_hi_u32 v3, v2, v6
	v_mul_hi_u32 v6, v4, v7
	;; [unrolled: 1-line block ×3, first 2 shown]
	s_ashr_i32 s42, s10, 31
	s_mov_b32 s43, s10
	s_mov_b32 s45, s8
	v_cmp_gt_i32_e64 s[0:1], s9, v0
	s_ashr_i32 s46, s11, 31
	s_mov_b32 s48, s11
	s_ashr_i32 s49, s9, 31
	s_mov_b32 s50, s9
	v_mov_b32_e32 v1, 0
	v_add_u32_e32 v15, v2, v3
	v_add_u32_e32 v16, v4, v6
	;; [unrolled: 1-line block ×3, first 2 shown]
	s_sub_i32 s53, 0, s11
	s_mov_b64 s[12:13], 0
	s_movk_i32 s54, 0x7fff
	s_ashr_i32 s14, s44, 31
	v_mov_b32_e32 v18, 0x7fc00000
	v_mov_b32_e32 v19, 0x7fc0
	s_branch .LBB19_3
.LBB19_2:                               ;   in Loop: Header=BB19_3 Depth=1
	s_or_b64 exec, exec, s[16:17]
	v_add_u32_e32 v13, s39, v13
	v_cmp_le_i32_e32 vcc, s8, v13
	s_or_b64 s[12:13], vcc, s[12:13]
	s_andn2_b64 exec, exec, s[12:13]
	s_cbranch_execz .LBB19_28
.LBB19_3:                               ; =>This Loop Header: Depth=1
                                        ;     Child Loop BB19_10 Depth 2
                                        ;       Child Loop BB19_17 Depth 3
                                        ;         Child Loop BB19_24 Depth 4
	v_add_u32_e32 v2, 1, v13
	v_mad_i64_i32 v[3:4], s[2:3], v2, s43, -1
                                        ; implicit-def: $vgpr5_vgpr6
	v_or_b32_e32 v2, s44, v4
	v_cmp_ne_u64_e32 vcc, 0, v[1:2]
	s_and_saveexec_b64 s[2:3], vcc
	s_xor_b64 s[4:5], exec, s[2:3]
	s_cbranch_execnz .LBB19_6
; %bb.4:                                ;   in Loop: Header=BB19_3 Depth=1
	s_andn2_saveexec_b64 s[2:3], s[4:5]
	s_cbranch_execnz .LBB19_7
.LBB19_5:                               ;   in Loop: Header=BB19_3 Depth=1
	s_or_b64 exec, exec, s[2:3]
	s_and_saveexec_b64 s[16:17], s[0:1]
	s_cbranch_execz .LBB19_2
	s_branch .LBB19_8
.LBB19_6:                               ;   in Loop: Header=BB19_3 Depth=1
	s_add_u32 s2, s45, s14
	s_mov_b32 s15, s14
	s_addc_u32 s3, s44, s14
	s_xor_b64 s[6:7], s[2:3], s[14:15]
	v_cvt_f32_u32_e32 v2, s6
	v_cvt_f32_u32_e32 v5, s7
	s_sub_u32 s15, 0, s6
	s_subb_u32 s16, 0, s7
	v_ashrrev_i32_e32 v6, 31, v4
	v_mac_f32_e32 v2, 0x4f800000, v5
	v_rcp_f32_e32 v2, v2
	v_mul_f32_e32 v2, 0x5f7ffffc, v2
	v_mul_f32_e32 v5, 0x2f800000, v2
	v_trunc_f32_e32 v5, v5
	v_mac_f32_e32 v2, 0xcf800000, v5
	v_cvt_u32_f32_e32 v5, v5
	v_cvt_u32_f32_e32 v2, v2
	v_readfirstlane_b32 s17, v5
	v_readfirstlane_b32 s2, v2
	s_mul_i32 s3, s15, s17
	s_mul_hi_u32 s19, s15, s2
	s_mul_i32 s18, s16, s2
	s_add_i32 s3, s19, s3
	s_add_i32 s3, s3, s18
	s_mul_i32 s20, s15, s2
	s_mul_i32 s19, s2, s3
	s_mul_hi_u32 s21, s2, s20
	s_mul_hi_u32 s18, s2, s3
	s_add_u32 s19, s21, s19
	s_addc_u32 s18, 0, s18
	s_mul_hi_u32 s22, s17, s20
	s_mul_i32 s20, s17, s20
	s_add_u32 s19, s19, s20
	s_mul_hi_u32 s21, s17, s3
	s_addc_u32 s18, s18, s22
	s_addc_u32 s19, s21, 0
	s_mul_i32 s3, s17, s3
	s_add_u32 s3, s18, s3
	s_addc_u32 s18, 0, s19
	s_add_u32 s19, s2, s3
	s_cselect_b64 s[2:3], -1, 0
	s_cmp_lg_u64 s[2:3], 0
	s_addc_u32 s17, s17, s18
	s_mul_i32 s2, s15, s17
	s_mul_hi_u32 s3, s15, s19
	s_add_i32 s2, s3, s2
	s_mul_i32 s16, s16, s19
	s_add_i32 s2, s2, s16
	s_mul_i32 s15, s15, s19
	s_mul_hi_u32 s16, s17, s15
	s_mul_i32 s18, s17, s15
	s_mul_i32 s21, s19, s2
	s_mul_hi_u32 s15, s19, s15
	s_mul_hi_u32 s20, s19, s2
	s_add_u32 s15, s15, s21
	s_addc_u32 s20, 0, s20
	s_add_u32 s15, s15, s18
	s_mul_hi_u32 s3, s17, s2
	s_addc_u32 s15, s20, s16
	s_addc_u32 s3, s3, 0
	s_mul_i32 s2, s17, s2
	s_add_u32 s2, s15, s2
	s_addc_u32 s15, 0, s3
	s_add_u32 s16, s19, s2
	s_cselect_b64 s[2:3], -1, 0
	s_cmp_lg_u64 s[2:3], 0
	v_add_co_u32_e32 v2, vcc, v3, v6
	s_addc_u32 s15, s17, s15
	v_xor_b32_e32 v7, v2, v6
	v_mad_u64_u32 v[2:3], s[2:3], v7, s15, 0
	v_mul_hi_u32 v5, v7, s16
	v_addc_co_u32_e32 v4, vcc, v4, v6, vcc
	v_xor_b32_e32 v8, v4, v6
	v_add_co_u32_e32 v9, vcc, v5, v2
	v_addc_co_u32_e32 v10, vcc, 0, v3, vcc
	v_mad_u64_u32 v[2:3], s[2:3], v8, s16, 0
	v_mad_u64_u32 v[4:5], s[2:3], v8, s15, 0
	v_add_co_u32_e32 v2, vcc, v9, v2
	v_addc_co_u32_e32 v2, vcc, v10, v3, vcc
	v_addc_co_u32_e32 v3, vcc, 0, v5, vcc
	v_add_co_u32_e32 v4, vcc, v2, v4
	v_addc_co_u32_e32 v2, vcc, 0, v3, vcc
	v_mul_lo_u32 v5, s7, v4
	v_mul_lo_u32 v9, s6, v2
	v_mad_u64_u32 v[2:3], s[2:3], s6, v4, 0
	v_add3_u32 v3, v3, v9, v5
	v_sub_u32_e32 v5, v8, v3
	v_mov_b32_e32 v9, s7
	v_sub_co_u32_e32 v2, vcc, v7, v2
	v_subb_co_u32_e64 v5, s[2:3], v5, v9, vcc
	v_subrev_co_u32_e64 v7, s[2:3], s6, v2
	v_subbrev_co_u32_e64 v5, s[2:3], 0, v5, s[2:3]
	v_cmp_le_u32_e64 s[2:3], s7, v5
	v_subb_co_u32_e32 v3, vcc, v8, v3, vcc
	v_cndmask_b32_e64 v9, 0, -1, s[2:3]
	v_cmp_le_u32_e64 s[2:3], s6, v7
	v_cmp_le_u32_e32 vcc, s7, v3
	v_cndmask_b32_e64 v7, 0, -1, s[2:3]
	v_cmp_eq_u32_e64 s[2:3], s7, v5
	v_cndmask_b32_e64 v8, 0, -1, vcc
	v_cmp_le_u32_e32 vcc, s6, v2
	v_cndmask_b32_e64 v5, v9, v7, s[2:3]
	v_cndmask_b32_e64 v2, 0, -1, vcc
	v_cmp_eq_u32_e32 vcc, s7, v3
	v_add_co_u32_e64 v7, s[2:3], 2, v4
	v_add_co_u32_e64 v9, s[2:3], 1, v4
	v_cndmask_b32_e32 v2, v8, v2, vcc
	v_cmp_ne_u32_e32 vcc, 0, v5
	v_cndmask_b32_e32 v3, v9, v7, vcc
	v_cmp_ne_u32_e32 vcc, 0, v2
	v_cndmask_b32_e32 v2, v4, v3, vcc
	v_xor_b32_e32 v3, s14, v6
	v_xor_b32_e32 v2, v2, v3
	v_sub_co_u32_e32 v5, vcc, v2, v3
                                        ; implicit-def: $vgpr3_vgpr4
	s_andn2_saveexec_b64 s[2:3], s[4:5]
	s_cbranch_execz .LBB19_5
.LBB19_7:                               ;   in Loop: Header=BB19_3 Depth=1
	v_cvt_f32_u32_e32 v2, s45
	s_sub_i32 s4, 0, s45
	v_rcp_iflag_f32_e32 v2, v2
	v_mul_f32_e32 v2, 0x4f7ffffe, v2
	v_cvt_u32_f32_e32 v2, v2
	v_mul_lo_u32 v4, s4, v2
	v_mul_hi_u32 v4, v2, v4
	v_add_u32_e32 v2, v2, v4
	v_mul_hi_u32 v2, v3, v2
	v_mul_lo_u32 v4, v2, s45
	v_add_u32_e32 v5, 1, v2
	v_sub_u32_e32 v3, v3, v4
	v_subrev_u32_e32 v4, s45, v3
	v_cmp_le_u32_e32 vcc, s45, v3
	v_cndmask_b32_e32 v3, v3, v4, vcc
	v_cndmask_b32_e32 v2, v2, v5, vcc
	v_add_u32_e32 v4, 1, v2
	v_cmp_le_u32_e32 vcc, s45, v3
	v_cndmask_b32_e32 v5, v2, v4, vcc
	s_or_b64 exec, exec, s[2:3]
	s_and_saveexec_b64 s[16:17], s[0:1]
	s_cbranch_execz .LBB19_2
.LBB19_8:                               ;   in Loop: Header=BB19_3 Depth=1
	v_sub_u32_e32 v2, 0, v13
	v_max_i32_e32 v2, v13, v2
	v_mul_hi_u32 v3, v2, v14
	v_ashrrev_i32_e32 v6, 31, v13
	v_xor_b32_e32 v6, s44, v6
	v_add_u32_e32 v20, 1, v5
	v_mul_lo_u32 v4, v3, s41
	v_add_u32_e32 v7, 1, v3
	s_mov_b64 s[18:19], 0
	v_sub_u32_e32 v2, v2, v4
	v_cmp_le_u32_e32 vcc, s41, v2
	v_subrev_u32_e32 v4, s41, v2
	v_cndmask_b32_e32 v3, v3, v7, vcc
	v_cndmask_b32_e32 v2, v2, v4, vcc
	v_add_u32_e32 v4, 1, v3
	v_cmp_le_u32_e32 vcc, s41, v2
	v_cndmask_b32_e32 v2, v3, v4, vcc
	v_xor_b32_e32 v2, v2, v6
	v_sub_u32_e32 v3, v2, v6
	v_mul_lo_u32 v2, v3, s8
	v_mul_lo_u32 v6, v13, s9
	v_sub_u32_e32 v2, v13, v2
	v_mul_lo_u32 v2, v2, s10
	v_ashrrev_i32_e32 v7, 31, v6
	v_sub_u32_e32 v4, 0, v2
	v_max_i32_e32 v4, v2, v4
	v_mul_hi_u32 v8, v4, v14
	v_ashrrev_i32_e32 v2, 31, v2
	v_xor_b32_e32 v2, s44, v2
	v_mul_lo_u32 v5, v8, s41
	v_add_u32_e32 v9, 1, v8
	v_sub_u32_e32 v4, v4, v5
	v_cmp_le_u32_e32 vcc, s41, v4
	v_cndmask_b32_e32 v5, v8, v9, vcc
	v_subrev_u32_e32 v8, s41, v4
	v_cndmask_b32_e32 v4, v4, v8, vcc
	v_add_u32_e32 v8, 1, v5
	v_cmp_le_u32_e32 vcc, s41, v4
	v_cndmask_b32_e32 v4, v5, v8, vcc
	v_xor_b32_e32 v4, v4, v2
	v_sub_u32_e32 v2, v4, v2
	v_mad_u64_u32 v[3:4], s[2:3], v3, s10, v[2:3]
	v_lshlrev_b64 v[4:5], 1, v[6:7]
	v_mov_b32_e32 v2, s38
	v_mul_lo_u32 v23, s11, v3
	v_add_co_u32_e32 v21, vcc, s37, v4
	v_addc_co_u32_e32 v22, vcc, v2, v5, vcc
	v_cmp_lt_i32_e64 s[2:3], v3, v20
	v_mov_b32_e32 v4, v0
	s_branch .LBB19_10
.LBB19_9:                               ;   in Loop: Header=BB19_10 Depth=2
	s_or_b64 exec, exec, s[20:21]
	v_add_u32_e32 v4, s40, v4
	v_cmp_le_i32_e32 vcc, s9, v4
	s_or_b64 s[18:19], vcc, s[18:19]
	s_andn2_b64 exec, exec, s[18:19]
	s_cbranch_execz .LBB19_2
.LBB19_10:                              ;   Parent Loop BB19_3 Depth=1
                                        ; =>  This Loop Header: Depth=2
                                        ;       Child Loop BB19_17 Depth 3
                                        ;         Child Loop BB19_24 Depth 4
	v_add_u32_e32 v7, 1, v4
	v_mad_u64_u32 v[5:6], s[4:5], v7, s48, -1
	v_mov_b32_e32 v2, v6
	v_mad_u64_u32 v[6:7], s[4:5], v7, s46, v[2:3]
                                        ; implicit-def: $vgpr7_vgpr8
	v_or_b32_e32 v2, s49, v6
	v_cmp_ne_u64_e32 vcc, 0, v[1:2]
	v_mov_b32_e32 v2, v6
	s_and_saveexec_b64 s[4:5], vcc
	s_xor_b64 s[6:7], exec, s[4:5]
	s_cbranch_execnz .LBB19_13
; %bb.11:                               ;   in Loop: Header=BB19_10 Depth=2
	s_andn2_saveexec_b64 s[4:5], s[6:7]
	s_cbranch_execnz .LBB19_14
.LBB19_12:                              ;   in Loop: Header=BB19_10 Depth=2
	s_or_b64 exec, exec, s[4:5]
	v_mov_b32_e32 v5, v1
	s_and_saveexec_b64 s[20:21], s[2:3]
	s_cbranch_execz .LBB19_9
	s_branch .LBB19_15
.LBB19_13:                              ;   in Loop: Header=BB19_10 Depth=2
	s_ashr_i32 s20, s49, 31
	s_add_u32 s4, s50, s20
	s_mov_b32 s21, s20
	s_addc_u32 s5, s49, s20
	s_xor_b64 s[22:23], s[4:5], s[20:21]
	v_cvt_f32_u32_e32 v6, s22
	v_cvt_f32_u32_e32 v7, s23
	s_sub_u32 s15, 0, s22
	s_subb_u32 s21, 0, s23
	v_ashrrev_i32_e32 v9, 31, v2
	v_mac_f32_e32 v6, 0x4f800000, v7
	v_rcp_f32_e32 v6, v6
	v_add_co_u32_e32 v5, vcc, v5, v9
	v_xor_b32_e32 v10, v5, v9
	v_mul_f32_e32 v6, 0x5f7ffffc, v6
	v_mul_f32_e32 v7, 0x2f800000, v6
	v_trunc_f32_e32 v7, v7
	v_mac_f32_e32 v6, 0xcf800000, v7
	v_cvt_u32_f32_e32 v7, v7
	v_cvt_u32_f32_e32 v6, v6
	v_addc_co_u32_e32 v2, vcc, v2, v9, vcc
	v_readfirstlane_b32 s24, v7
	v_readfirstlane_b32 s4, v6
	s_mul_i32 s5, s15, s24
	s_mul_hi_u32 s26, s15, s4
	s_mul_i32 s25, s21, s4
	s_add_i32 s5, s26, s5
	s_add_i32 s5, s5, s25
	s_mul_i32 s27, s15, s4
	s_mul_i32 s26, s4, s5
	s_mul_hi_u32 s28, s4, s27
	s_mul_hi_u32 s25, s4, s5
	s_add_u32 s26, s28, s26
	s_addc_u32 s25, 0, s25
	s_mul_hi_u32 s29, s24, s27
	s_mul_i32 s27, s24, s27
	s_add_u32 s26, s26, s27
	s_mul_hi_u32 s28, s24, s5
	s_addc_u32 s25, s25, s29
	s_addc_u32 s26, s28, 0
	s_mul_i32 s5, s24, s5
	s_add_u32 s5, s25, s5
	s_addc_u32 s25, 0, s26
	s_add_u32 s26, s4, s5
	s_cselect_b64 s[4:5], -1, 0
	s_cmp_lg_u64 s[4:5], 0
	s_addc_u32 s24, s24, s25
	s_mul_i32 s4, s15, s24
	s_mul_hi_u32 s5, s15, s26
	s_add_i32 s4, s5, s4
	s_mul_i32 s21, s21, s26
	s_add_i32 s4, s4, s21
	s_mul_i32 s15, s15, s26
	s_mul_hi_u32 s21, s24, s15
	s_mul_i32 s25, s24, s15
	s_mul_i32 s28, s26, s4
	s_mul_hi_u32 s15, s26, s15
	s_mul_hi_u32 s27, s26, s4
	s_add_u32 s15, s15, s28
	s_addc_u32 s27, 0, s27
	s_add_u32 s15, s15, s25
	s_mul_hi_u32 s5, s24, s4
	s_addc_u32 s15, s27, s21
	s_addc_u32 s5, s5, 0
	s_mul_i32 s4, s24, s4
	s_add_u32 s4, s15, s4
	s_addc_u32 s15, 0, s5
	s_add_u32 s21, s26, s4
	s_cselect_b64 s[4:5], -1, 0
	s_cmp_lg_u64 s[4:5], 0
	s_addc_u32 s15, s24, s15
	v_mad_u64_u32 v[5:6], s[4:5], v10, s15, 0
	v_mul_hi_u32 v7, v10, s21
	v_xor_b32_e32 v2, v2, v9
	v_add_co_u32_e32 v11, vcc, v7, v5
	v_addc_co_u32_e32 v12, vcc, 0, v6, vcc
	v_mad_u64_u32 v[5:6], s[4:5], v2, s21, 0
	v_mad_u64_u32 v[7:8], s[4:5], v2, s15, 0
	v_add_co_u32_e32 v5, vcc, v11, v5
	v_addc_co_u32_e32 v5, vcc, v12, v6, vcc
	v_addc_co_u32_e32 v6, vcc, 0, v8, vcc
	v_add_co_u32_e32 v7, vcc, v5, v7
	v_addc_co_u32_e32 v5, vcc, 0, v6, vcc
	v_mul_lo_u32 v8, s23, v7
	v_mul_lo_u32 v11, s22, v5
	v_mad_u64_u32 v[5:6], s[4:5], s22, v7, 0
	v_add3_u32 v6, v6, v11, v8
	v_sub_u32_e32 v8, v2, v6
	v_mov_b32_e32 v11, s23
	v_sub_co_u32_e32 v5, vcc, v10, v5
	v_subb_co_u32_e64 v8, s[4:5], v8, v11, vcc
	v_subrev_co_u32_e64 v10, s[4:5], s22, v5
	v_subbrev_co_u32_e64 v8, s[4:5], 0, v8, s[4:5]
	v_cmp_le_u32_e64 s[4:5], s23, v8
	v_subb_co_u32_e32 v2, vcc, v2, v6, vcc
	v_cndmask_b32_e64 v11, 0, -1, s[4:5]
	v_cmp_le_u32_e64 s[4:5], s22, v10
	v_cmp_le_u32_e32 vcc, s23, v2
	v_cndmask_b32_e64 v10, 0, -1, s[4:5]
	v_cmp_eq_u32_e64 s[4:5], s23, v8
	v_cndmask_b32_e64 v6, 0, -1, vcc
	v_cmp_le_u32_e32 vcc, s22, v5
	v_cndmask_b32_e64 v8, v11, v10, s[4:5]
	v_cndmask_b32_e64 v5, 0, -1, vcc
	v_cmp_eq_u32_e32 vcc, s23, v2
	v_add_co_u32_e64 v10, s[4:5], 2, v7
	v_add_co_u32_e64 v11, s[4:5], 1, v7
	v_cndmask_b32_e32 v2, v6, v5, vcc
	v_cmp_ne_u32_e32 vcc, 0, v8
	v_cndmask_b32_e32 v5, v11, v10, vcc
	v_cmp_ne_u32_e32 vcc, 0, v2
	v_cndmask_b32_e32 v2, v7, v5, vcc
	v_xor_b32_e32 v5, s20, v9
	v_xor_b32_e32 v2, v2, v5
	v_sub_co_u32_e32 v7, vcc, v2, v5
                                        ; implicit-def: $vgpr5_vgpr6
	s_andn2_saveexec_b64 s[4:5], s[6:7]
	s_cbranch_execz .LBB19_12
.LBB19_14:                              ;   in Loop: Header=BB19_10 Depth=2
	v_cvt_f32_u32_e32 v2, s50
	s_sub_i32 s6, 0, s50
	v_rcp_iflag_f32_e32 v2, v2
	v_mul_f32_e32 v2, 0x4f7ffffe, v2
	v_cvt_u32_f32_e32 v2, v2
	v_mul_lo_u32 v6, s6, v2
	v_mul_hi_u32 v6, v2, v6
	v_add_u32_e32 v2, v2, v6
	v_mul_hi_u32 v2, v5, v2
	v_mul_lo_u32 v6, v2, s50
	v_add_u32_e32 v7, 1, v2
	v_sub_u32_e32 v5, v5, v6
	v_subrev_u32_e32 v6, s50, v5
	v_cmp_le_u32_e32 vcc, s50, v5
	v_cndmask_b32_e32 v5, v5, v6, vcc
	v_cndmask_b32_e32 v2, v2, v7, vcc
	v_add_u32_e32 v6, 1, v2
	v_cmp_le_u32_e32 vcc, s50, v5
	v_cndmask_b32_e32 v7, v2, v6, vcc
	s_or_b64 exec, exec, s[4:5]
	v_mov_b32_e32 v5, v1
	s_and_saveexec_b64 s[20:21], s[2:3]
	s_cbranch_execz .LBB19_9
.LBB19_15:                              ;   in Loop: Header=BB19_10 Depth=2
	v_mul_hi_u32 v2, v4, v15
	v_add_u32_e32 v24, 1, v7
	v_lshlrev_b64 v[7:8], 1, v[4:5]
	v_mul_lo_u32 v5, v4, s11
	v_mul_lo_u32 v6, v2, s47
	v_add_u32_e32 v9, 1, v2
	s_mov_b64 s[22:23], 0
	v_sub_u32_e32 v10, 0, v5
	v_max_i32_e32 v10, v5, v10
	v_sub_u32_e32 v6, v4, v6
	v_mul_hi_u32 v11, v10, v15
	v_cmp_le_u32_e32 vcc, s47, v6
	v_cndmask_b32_e32 v2, v2, v9, vcc
	v_subrev_u32_e32 v9, s47, v6
	v_cndmask_b32_e32 v6, v6, v9, vcc
	v_cmp_le_u32_e32 vcc, s47, v6
	v_mul_lo_u32 v6, v11, s47
	v_add_u32_e32 v9, 1, v2
	v_cndmask_b32_e32 v2, v2, v9, vcc
	v_xor_b32_e32 v2, s49, v2
	v_subrev_u32_e32 v9, s49, v2
	v_ashrrev_i32_e32 v2, 31, v5
	v_sub_u32_e32 v5, v10, v6
	v_add_u32_e32 v6, 1, v11
	v_cmp_le_u32_e32 vcc, s47, v5
	v_subrev_u32_e32 v10, s47, v5
	v_cndmask_b32_e32 v6, v11, v6, vcc
	v_cndmask_b32_e32 v5, v5, v10, vcc
	v_add_u32_e32 v10, 1, v6
	v_cmp_le_u32_e32 vcc, s47, v5
	v_xor_b32_e32 v2, s49, v2
	v_cndmask_b32_e32 v5, v6, v10, vcc
	v_xor_b32_e32 v5, v5, v2
	v_sub_u32_e32 v2, v5, v2
	v_mad_u64_u32 v[5:6], s[4:5], v9, s11, v[2:3]
	v_add_co_u32_e32 v6, vcc, v21, v7
	v_addc_co_u32_e32 v7, vcc, v22, v8, vcc
	v_cmp_lt_i32_e64 s[4:5], v5, v24
	v_mov_b32_e32 v25, v23
	v_mov_b32_e32 v12, v3
	s_branch .LBB19_17
.LBB19_16:                              ;   in Loop: Header=BB19_17 Depth=3
	s_or_b64 exec, exec, s[24:25]
	v_cmp_ge_i32_e32 vcc, v26, v20
	v_add_u32_e32 v25, s11, v25
	s_or_b64 s[22:23], vcc, s[22:23]
	v_mov_b32_e32 v12, v26
	s_andn2_b64 exec, exec, s[22:23]
	s_cbranch_execz .LBB19_9
.LBB19_17:                              ;   Parent Loop BB19_3 Depth=1
                                        ;     Parent Loop BB19_10 Depth=2
                                        ; =>    This Loop Header: Depth=3
                                        ;         Child Loop BB19_24 Depth 4
	v_add_u32_e32 v26, 1, v12
	s_and_saveexec_b64 s[24:25], s[4:5]
	s_cbranch_execz .LBB19_16
; %bb.18:                               ;   in Loop: Header=BB19_17 Depth=3
	v_mad_i64_i32 v[8:9], s[6:7], v26, s45, -1
                                        ; implicit-def: $vgpr10_vgpr11
	v_or_b32_e32 v2, s42, v9
	v_cmp_ne_u64_e32 vcc, 0, v[1:2]
	s_and_saveexec_b64 s[6:7], vcc
	s_xor_b64 s[26:27], exec, s[6:7]
	s_cbranch_execz .LBB19_20
; %bb.19:                               ;   in Loop: Header=BB19_17 Depth=3
	s_ashr_i32 s28, s42, 31
	s_add_u32 s6, s43, s28
	s_mov_b32 s29, s28
	s_addc_u32 s7, s42, s28
	s_xor_b64 s[30:31], s[6:7], s[28:29]
	v_cvt_f32_u32_e32 v2, s30
	v_cvt_f32_u32_e32 v10, s31
	s_sub_u32 s15, 0, s30
	s_subb_u32 s29, 0, s31
	v_mac_f32_e32 v2, 0x4f800000, v10
	v_rcp_f32_e32 v2, v2
	v_mul_f32_e32 v2, 0x5f7ffffc, v2
	v_mul_f32_e32 v10, 0x2f800000, v2
	v_trunc_f32_e32 v10, v10
	v_mac_f32_e32 v2, 0xcf800000, v10
	v_cvt_u32_f32_e32 v10, v10
	v_cvt_u32_f32_e32 v2, v2
	v_readfirstlane_b32 s34, v10
	v_readfirstlane_b32 s6, v2
	s_mul_i32 s7, s15, s34
	s_mul_hi_u32 s55, s15, s6
	s_mul_i32 s35, s29, s6
	s_add_i32 s7, s55, s7
	s_add_i32 s7, s7, s35
	s_mul_i32 s56, s15, s6
	s_mul_i32 s55, s6, s7
	s_mul_hi_u32 s57, s6, s56
	s_mul_hi_u32 s35, s6, s7
	s_add_u32 s55, s57, s55
	s_addc_u32 s35, 0, s35
	s_mul_hi_u32 s58, s34, s56
	s_mul_i32 s56, s34, s56
	s_add_u32 s55, s55, s56
	s_mul_hi_u32 s57, s34, s7
	s_addc_u32 s35, s35, s58
	s_addc_u32 s55, s57, 0
	s_mul_i32 s7, s34, s7
	s_add_u32 s7, s35, s7
	s_addc_u32 s35, 0, s55
	s_add_u32 s55, s6, s7
	s_cselect_b64 s[6:7], -1, 0
	s_cmp_lg_u64 s[6:7], 0
	s_addc_u32 s34, s34, s35
	s_mul_i32 s6, s15, s34
	s_mul_hi_u32 s7, s15, s55
	s_add_i32 s6, s7, s6
	s_mul_i32 s29, s29, s55
	s_add_i32 s6, s6, s29
	s_mul_i32 s15, s15, s55
	s_mul_hi_u32 s29, s34, s15
	s_mul_i32 s35, s34, s15
	s_mul_i32 s57, s55, s6
	s_mul_hi_u32 s15, s55, s15
	s_mul_hi_u32 s56, s55, s6
	s_add_u32 s15, s15, s57
	s_addc_u32 s56, 0, s56
	s_add_u32 s15, s15, s35
	s_mul_hi_u32 s7, s34, s6
	s_addc_u32 s15, s56, s29
	s_addc_u32 s7, s7, 0
	s_mul_i32 s6, s34, s6
	s_add_u32 s6, s15, s6
	s_addc_u32 s15, 0, s7
	s_add_u32 s29, s55, s6
	s_cselect_b64 s[6:7], -1, 0
	v_ashrrev_i32_e32 v2, 31, v9
	s_cmp_lg_u64 s[6:7], 0
	v_add_co_u32_e32 v8, vcc, v8, v2
	s_addc_u32 s15, s34, s15
	v_xor_b32_e32 v27, v8, v2
	v_addc_co_u32_e32 v10, vcc, v9, v2, vcc
	v_mad_u64_u32 v[8:9], s[6:7], v27, s15, 0
	v_mul_hi_u32 v11, v27, s29
	v_xor_b32_e32 v28, v10, v2
	v_xor_b32_e32 v2, s28, v2
	v_add_co_u32_e32 v29, vcc, v11, v8
	v_addc_co_u32_e32 v30, vcc, 0, v9, vcc
	v_mad_u64_u32 v[8:9], s[6:7], v28, s29, 0
	v_mad_u64_u32 v[10:11], s[6:7], v28, s15, 0
	v_add_co_u32_e32 v8, vcc, v29, v8
	v_addc_co_u32_e32 v8, vcc, v30, v9, vcc
	v_addc_co_u32_e32 v9, vcc, 0, v11, vcc
	v_add_co_u32_e32 v10, vcc, v8, v10
	v_addc_co_u32_e32 v8, vcc, 0, v9, vcc
	v_mul_lo_u32 v11, s31, v10
	v_mul_lo_u32 v29, s30, v8
	v_mad_u64_u32 v[8:9], s[6:7], s30, v10, 0
	v_add3_u32 v9, v9, v29, v11
	v_sub_u32_e32 v11, v28, v9
	v_mov_b32_e32 v29, s31
	v_sub_co_u32_e32 v8, vcc, v27, v8
	v_subb_co_u32_e64 v11, s[6:7], v11, v29, vcc
	v_subrev_co_u32_e64 v27, s[6:7], s30, v8
	v_subbrev_co_u32_e64 v11, s[6:7], 0, v11, s[6:7]
	v_cmp_le_u32_e64 s[6:7], s31, v11
	v_subb_co_u32_e32 v9, vcc, v28, v9, vcc
	v_cndmask_b32_e64 v29, 0, -1, s[6:7]
	v_cmp_le_u32_e64 s[6:7], s30, v27
	v_cmp_le_u32_e32 vcc, s31, v9
	v_cndmask_b32_e64 v27, 0, -1, s[6:7]
	v_cmp_eq_u32_e64 s[6:7], s31, v11
	v_cndmask_b32_e64 v28, 0, -1, vcc
	v_cmp_le_u32_e32 vcc, s30, v8
	v_cndmask_b32_e64 v11, v29, v27, s[6:7]
	v_cndmask_b32_e64 v8, 0, -1, vcc
	v_cmp_eq_u32_e32 vcc, s31, v9
	v_add_co_u32_e64 v27, s[6:7], 2, v10
	v_add_co_u32_e64 v29, s[6:7], 1, v10
	v_cndmask_b32_e32 v8, v28, v8, vcc
	v_cmp_ne_u32_e32 vcc, 0, v11
	v_cndmask_b32_e32 v9, v29, v27, vcc
	v_cmp_ne_u32_e32 vcc, 0, v8
	v_cndmask_b32_e32 v8, v10, v9, vcc
	v_xor_b32_e32 v8, v8, v2
	v_sub_co_u32_e32 v10, vcc, v8, v2
                                        ; implicit-def: $vgpr8_vgpr9
.LBB19_20:                              ;   in Loop: Header=BB19_17 Depth=3
	s_andn2_saveexec_b64 s[6:7], s[26:27]
	s_cbranch_execz .LBB19_22
; %bb.21:                               ;   in Loop: Header=BB19_17 Depth=3
	v_cvt_f32_u32_e32 v2, s43
	s_sub_i32 s15, 0, s43
	v_rcp_iflag_f32_e32 v2, v2
	v_mul_f32_e32 v2, 0x4f7ffffe, v2
	v_cvt_u32_f32_e32 v2, v2
	v_mul_lo_u32 v9, s15, v2
	v_mul_hi_u32 v9, v2, v9
	v_add_u32_e32 v2, v2, v9
	v_mul_hi_u32 v2, v8, v2
	v_mul_lo_u32 v9, v2, s43
	v_add_u32_e32 v10, 1, v2
	v_sub_u32_e32 v8, v8, v9
	v_subrev_u32_e32 v9, s43, v8
	v_cmp_le_u32_e32 vcc, s43, v8
	v_cndmask_b32_e32 v8, v8, v9, vcc
	v_cndmask_b32_e32 v2, v2, v10, vcc
	v_add_u32_e32 v9, 1, v2
	v_cmp_le_u32_e32 vcc, s43, v8
	v_cndmask_b32_e32 v10, v2, v9, vcc
.LBB19_22:                              ;   in Loop: Header=BB19_17 Depth=3
	s_or_b64 exec, exec, s[6:7]
	global_load_ushort v27, v[6:7], off
	v_sub_u32_e32 v2, 0, v12
	v_max_i32_e32 v2, v12, v2
	v_mul_hi_u32 v8, v2, v16
	v_ashrrev_i32_e32 v11, 31, v12
	v_xor_b32_e32 v11, s42, v11
	s_mov_b64 s[26:27], 0
	v_mul_lo_u32 v9, v8, s51
	v_sub_u32_e32 v2, v2, v9
	v_add_u32_e32 v9, 1, v8
	v_cmp_le_u32_e32 vcc, s51, v2
	v_cndmask_b32_e32 v8, v8, v9, vcc
	v_subrev_u32_e32 v9, s51, v2
	v_cndmask_b32_e32 v2, v2, v9, vcc
	v_add_u32_e32 v9, 1, v8
	v_cmp_le_u32_e32 vcc, s51, v2
	v_cndmask_b32_e32 v2, v8, v9, vcc
	v_xor_b32_e32 v2, v2, v11
	v_sub_u32_e32 v2, v2, v11
	v_mul_lo_u32 v8, v2, s10
	v_mul_lo_u32 v2, v2, s8
	v_sub_u32_e32 v8, v12, v8
	v_mul_lo_u32 v8, v8, s8
	v_sub_u32_e32 v9, 0, v8
	v_max_i32_e32 v9, v8, v9
	v_mul_hi_u32 v11, v9, v16
	v_ashrrev_i32_e32 v8, 31, v8
	v_xor_b32_e32 v8, s42, v8
	v_mul_lo_u32 v12, v11, s51
	v_sub_u32_e32 v9, v9, v12
	v_add_u32_e32 v12, 1, v11
	v_cmp_le_u32_e32 vcc, s51, v9
	v_cndmask_b32_e32 v11, v11, v12, vcc
	v_subrev_u32_e32 v12, s51, v9
	v_cndmask_b32_e32 v9, v9, v12, vcc
	v_add_u32_e32 v12, 1, v11
	v_cmp_le_u32_e32 vcc, s51, v9
	v_cndmask_b32_e32 v9, v11, v12, vcc
	v_xor_b32_e32 v9, v9, v8
	v_sub_u32_e32 v8, v9, v8
	v_not_b32_e32 v9, v10
	v_add3_u32 v2, v8, v2, v9
	v_cvt_f32_i32_e32 v2, v2
	v_mov_b32_e32 v10, v5
	v_bfe_u32 v8, v2, 16, 1
	v_add3_u32 v2, v2, v8, s54
	v_add_u32_e32 v8, 1, v5
	v_mad_i64_i32 v[8:9], s[6:7], s50, v8, -1
	v_and_b32_e32 v28, 0xffff0000, v2
	s_branch .LBB19_24
.LBB19_23:                              ;   in Loop: Header=BB19_24 Depth=4
	s_or_b64 exec, exec, s[6:7]
	v_sub_u32_e32 v12, 0, v10
	v_max_i32_e32 v12, v10, v12
	v_mul_hi_u32 v29, v12, v17
	v_ashrrev_i32_e32 v2, 31, v10
	v_xor_b32_e32 v2, s46, v2
	v_mul_lo_u32 v30, v29, s52
	v_sub_u32_e32 v12, v12, v30
	v_cmp_le_u32_e32 vcc, s52, v12
	v_add_u32_e32 v30, 1, v29
	v_cndmask_b32_e32 v29, v29, v30, vcc
	v_subrev_u32_e32 v30, s52, v12
	v_cndmask_b32_e32 v12, v12, v30, vcc
	v_cmp_le_u32_e32 vcc, s52, v12
	v_add_u32_e32 v12, 1, v29
	v_cndmask_b32_e32 v12, v29, v12, vcc
	v_xor_b32_e32 v12, v12, v2
	v_sub_u32_e32 v2, v12, v2
	v_mad_u64_u32 v[29:30], s[6:7], s53, v2, v[10:11]
	v_mul_lo_u32 v12, v2, s9
	v_not_b32_e32 v11, v11
	v_mul_lo_u32 v2, v29, s9
	v_sub_u32_e32 v30, 0, v2
	v_ashrrev_i32_e32 v29, 31, v2
	v_max_i32_e32 v2, v2, v30
	v_mul_hi_u32 v30, v2, v17
	v_xor_b32_e32 v29, s46, v29
	v_mul_lo_u32 v31, v30, s52
	v_sub_u32_e32 v2, v2, v31
	v_cmp_le_u32_e32 vcc, s52, v2
	v_add_u32_e32 v31, 1, v30
	v_cndmask_b32_e32 v30, v30, v31, vcc
	v_subrev_u32_e32 v31, s52, v2
	v_cndmask_b32_e32 v2, v2, v31, vcc
	v_cmp_le_u32_e32 vcc, s52, v2
	v_add_u32_e32 v2, 1, v30
	v_cndmask_b32_e32 v2, v30, v2, vcc
	v_xor_b32_e32 v2, v2, v29
	v_sub_u32_e32 v29, v2, v29
	v_add_u32_e32 v2, 1, v10
	v_add_u32_e32 v10, v25, v10
	v_add3_u32 v12, v29, v12, v11
	v_ashrrev_i32_e32 v11, 31, v10
	v_lshlrev_b64 v[10:11], 1, v[10:11]
	v_mov_b32_e32 v29, s36
	v_add_co_u32_e32 v10, vcc, s33, v10
	v_addc_co_u32_e32 v11, vcc, v29, v11, vcc
	global_load_ushort v10, v[10:11], off
	v_cvt_f32_i32_e32 v12, v12
	s_waitcnt vmcnt(0)
	v_lshlrev_b32_e32 v10, 16, v10
	v_div_scale_f32 v11, s[6:7], v28, v28, v10
	v_rcp_f32_e32 v29, v11
	v_fma_f32 v30, -v11, v29, 1.0
	v_fmac_f32_e32 v29, v30, v29
	v_div_scale_f32 v30, vcc, v10, v28, v10
	v_mul_f32_e32 v31, v30, v29
	v_fma_f32 v32, -v11, v31, v30
	v_fmac_f32_e32 v31, v32, v29
	v_fma_f32 v11, -v11, v31, v30
	v_div_fmas_f32 v11, v11, v29, v31
	v_bfe_u32 v29, v12, 16, 1
	v_add3_u32 v12, v12, v29, s54
	v_and_b32_e32 v12, 0xffff0000, v12
	v_div_fixup_f32 v10, v11, v28, v10
	v_bfe_u32 v11, v10, 16, 1
	v_add3_u32 v11, v10, v11, s54
	v_and_b32_e32 v11, 0xffff0000, v11
	v_cmp_o_f32_e32 vcc, v10, v10
	v_cndmask_b32_e32 v10, v18, v11, vcc
	v_div_scale_f32 v11, s[6:7], v12, v12, v10
	v_rcp_f32_e32 v29, v11
	v_fma_f32 v30, -v11, v29, 1.0
	v_fmac_f32_e32 v29, v30, v29
	v_div_scale_f32 v30, vcc, v10, v12, v10
	v_mul_f32_e32 v31, v30, v29
	v_fma_f32 v32, -v11, v31, v30
	v_fmac_f32_e32 v31, v32, v29
	v_fma_f32 v11, -v11, v31, v30
	v_div_fmas_f32 v11, v11, v29, v31
	v_div_fixup_f32 v10, v11, v12, v10
	v_bfe_u32 v11, v10, 16, 1
	v_add3_u32 v11, v10, v11, s54
	v_and_b32_e32 v11, 0xffff0000, v11
	v_cmp_o_f32_e32 vcc, v10, v10
	v_lshlrev_b32_e32 v12, 16, v27
	v_cndmask_b32_e32 v10, v18, v11, vcc
	v_add_f32_e32 v10, v10, v12
	v_bfe_u32 v11, v10, 16, 1
	v_add3_u32 v11, v10, v11, s54
	v_cmp_o_f32_e32 vcc, v10, v10
	v_cndmask_b32_sdwa v27, v19, v11, vcc dst_sel:DWORD dst_unused:UNUSED_PAD src0_sel:DWORD src1_sel:WORD_1
	v_add_co_u32_e32 v8, vcc, s50, v8
	v_mov_b32_e32 v10, s49
	v_addc_co_u32_e32 v9, vcc, v9, v10, vcc
	v_cmp_ge_i32_e32 vcc, v2, v24
	s_or_b64 s[26:27], vcc, s[26:27]
	v_mov_b32_e32 v10, v2
	global_store_short v[6:7], v27, off
	s_andn2_b64 exec, exec, s[26:27]
	s_cbranch_execz .LBB19_16
.LBB19_24:                              ;   Parent Loop BB19_3 Depth=1
                                        ;     Parent Loop BB19_10 Depth=2
                                        ;       Parent Loop BB19_17 Depth=3
                                        ; =>      This Inner Loop Header: Depth=4
	v_or_b32_e32 v2, s46, v9
	v_cmp_ne_u64_e32 vcc, 0, v[1:2]
                                        ; implicit-def: $vgpr11_vgpr12
	s_and_saveexec_b64 s[6:7], vcc
	s_xor_b64 s[28:29], exec, s[6:7]
	s_cbranch_execz .LBB19_26
; %bb.25:                               ;   in Loop: Header=BB19_24 Depth=4
	s_ashr_i32 s30, s46, 31
	s_add_u32 s6, s48, s30
	s_mov_b32 s31, s30
	s_addc_u32 s7, s46, s30
	s_xor_b64 s[34:35], s[6:7], s[30:31]
	v_cvt_f32_u32_e32 v2, s34
	v_cvt_f32_u32_e32 v11, s35
	s_sub_u32 s15, 0, s34
	s_subb_u32 s31, 0, s35
	v_mac_f32_e32 v2, 0x4f800000, v11
	v_rcp_f32_e32 v2, v2
	v_mul_f32_e32 v2, 0x5f7ffffc, v2
	v_mul_f32_e32 v11, 0x2f800000, v2
	v_trunc_f32_e32 v11, v11
	v_mac_f32_e32 v2, 0xcf800000, v11
	v_cvt_u32_f32_e32 v11, v11
	v_cvt_u32_f32_e32 v2, v2
	v_readfirstlane_b32 s55, v11
	v_readfirstlane_b32 s6, v2
	s_mul_i32 s7, s15, s55
	s_mul_hi_u32 s57, s15, s6
	s_mul_i32 s56, s31, s6
	s_add_i32 s7, s57, s7
	s_add_i32 s7, s7, s56
	s_mul_i32 s58, s15, s6
	s_mul_i32 s57, s6, s7
	s_mul_hi_u32 s59, s6, s58
	s_mul_hi_u32 s56, s6, s7
	s_add_u32 s57, s59, s57
	s_addc_u32 s56, 0, s56
	s_mul_hi_u32 s60, s55, s58
	s_mul_i32 s58, s55, s58
	s_add_u32 s57, s57, s58
	s_mul_hi_u32 s59, s55, s7
	s_addc_u32 s56, s56, s60
	s_addc_u32 s57, s59, 0
	s_mul_i32 s7, s55, s7
	s_add_u32 s7, s56, s7
	s_addc_u32 s56, 0, s57
	s_add_u32 s57, s6, s7
	s_cselect_b64 s[6:7], -1, 0
	s_cmp_lg_u64 s[6:7], 0
	s_addc_u32 s55, s55, s56
	s_mul_i32 s6, s15, s55
	s_mul_hi_u32 s7, s15, s57
	s_add_i32 s6, s7, s6
	s_mul_i32 s31, s31, s57
	s_add_i32 s6, s6, s31
	s_mul_i32 s15, s15, s57
	s_mul_hi_u32 s31, s55, s15
	s_mul_i32 s56, s55, s15
	s_mul_i32 s59, s57, s6
	s_mul_hi_u32 s15, s57, s15
	s_mul_hi_u32 s58, s57, s6
	s_add_u32 s15, s15, s59
	s_addc_u32 s58, 0, s58
	s_add_u32 s15, s15, s56
	s_mul_hi_u32 s7, s55, s6
	s_addc_u32 s15, s58, s31
	s_addc_u32 s7, s7, 0
	s_mul_i32 s6, s55, s6
	s_add_u32 s6, s15, s6
	s_addc_u32 s15, 0, s7
	s_add_u32 s31, s57, s6
	s_cselect_b64 s[6:7], -1, 0
	v_ashrrev_i32_e32 v2, 31, v9
	s_cmp_lg_u64 s[6:7], 0
	v_add_co_u32_e32 v11, vcc, v8, v2
	s_addc_u32 s15, s55, s15
	v_xor_b32_e32 v31, v11, v2
	v_mad_u64_u32 v[11:12], s[6:7], v31, s15, 0
	v_mul_hi_u32 v30, v31, s31
	v_addc_co_u32_e32 v29, vcc, v9, v2, vcc
	v_xor_b32_e32 v32, v29, v2
	v_add_co_u32_e32 v33, vcc, v30, v11
	v_addc_co_u32_e32 v34, vcc, 0, v12, vcc
	v_mad_u64_u32 v[11:12], s[6:7], v32, s31, 0
	v_mad_u64_u32 v[29:30], s[6:7], v32, s15, 0
	v_add_co_u32_e32 v11, vcc, v33, v11
	v_addc_co_u32_e32 v11, vcc, v34, v12, vcc
	v_addc_co_u32_e32 v12, vcc, 0, v30, vcc
	v_add_co_u32_e32 v29, vcc, v11, v29
	v_addc_co_u32_e32 v11, vcc, 0, v12, vcc
	v_mul_lo_u32 v30, s35, v29
	v_mul_lo_u32 v33, s34, v11
	v_mad_u64_u32 v[11:12], s[6:7], s34, v29, 0
	v_xor_b32_e32 v2, s30, v2
	v_add3_u32 v12, v12, v33, v30
	v_sub_u32_e32 v30, v32, v12
	v_mov_b32_e32 v33, s35
	v_sub_co_u32_e32 v11, vcc, v31, v11
	v_subb_co_u32_e64 v30, s[6:7], v30, v33, vcc
	v_subrev_co_u32_e64 v31, s[6:7], s34, v11
	v_subbrev_co_u32_e64 v30, s[6:7], 0, v30, s[6:7]
	v_cmp_le_u32_e64 s[6:7], s35, v30
	v_subb_co_u32_e32 v12, vcc, v32, v12, vcc
	v_cndmask_b32_e64 v33, 0, -1, s[6:7]
	v_cmp_le_u32_e64 s[6:7], s34, v31
	v_cmp_le_u32_e32 vcc, s35, v12
	v_cndmask_b32_e64 v31, 0, -1, s[6:7]
	v_cmp_eq_u32_e64 s[6:7], s35, v30
	v_cndmask_b32_e64 v32, 0, -1, vcc
	v_cmp_le_u32_e32 vcc, s34, v11
	v_cndmask_b32_e64 v30, v33, v31, s[6:7]
	v_cndmask_b32_e64 v11, 0, -1, vcc
	v_cmp_eq_u32_e32 vcc, s35, v12
	v_add_co_u32_e64 v31, s[6:7], 2, v29
	v_add_co_u32_e64 v33, s[6:7], 1, v29
	v_cndmask_b32_e32 v11, v32, v11, vcc
	v_cmp_ne_u32_e32 vcc, 0, v30
	v_cndmask_b32_e32 v12, v33, v31, vcc
	v_cmp_ne_u32_e32 vcc, 0, v11
	v_cndmask_b32_e32 v11, v29, v12, vcc
	v_xor_b32_e32 v11, v11, v2
	v_sub_co_u32_e32 v11, vcc, v11, v2
.LBB19_26:                              ;   in Loop: Header=BB19_24 Depth=4
	s_andn2_saveexec_b64 s[6:7], s[28:29]
	s_cbranch_execz .LBB19_23
; %bb.27:                               ;   in Loop: Header=BB19_24 Depth=4
	v_cvt_f32_u32_e32 v2, s48
	s_sub_i32 s15, 0, s48
	v_rcp_iflag_f32_e32 v2, v2
	v_mul_f32_e32 v2, 0x4f7ffffe, v2
	v_cvt_u32_f32_e32 v2, v2
	v_mul_lo_u32 v11, s15, v2
	v_mul_hi_u32 v11, v2, v11
	v_add_u32_e32 v2, v2, v11
	v_mul_hi_u32 v2, v8, v2
	v_mul_lo_u32 v11, v2, s48
	v_add_u32_e32 v12, 1, v2
	v_sub_u32_e32 v11, v8, v11
	v_subrev_u32_e32 v29, s48, v11
	v_cmp_le_u32_e32 vcc, s48, v11
	v_cndmask_b32_e32 v11, v11, v29, vcc
	v_cndmask_b32_e32 v2, v2, v12, vcc
	v_add_u32_e32 v12, 1, v2
	v_cmp_le_u32_e32 vcc, s48, v11
	v_cndmask_b32_e32 v11, v2, v12, vcc
	s_branch .LBB19_23
.LBB19_28:
	s_endpgm
	.section	.rodata,"a",@progbits
	.p2align	6, 0x0
	.amdhsa_kernel _ZN2at6native12_GLOBAL__N_126adaptive_average_gradinputIN3c108BFloat16EEEvPT_PKS5_iiii
		.amdhsa_group_segment_fixed_size 0
		.amdhsa_private_segment_fixed_size 0
		.amdhsa_kernarg_size 288
		.amdhsa_user_sgpr_count 6
		.amdhsa_user_sgpr_private_segment_buffer 1
		.amdhsa_user_sgpr_dispatch_ptr 0
		.amdhsa_user_sgpr_queue_ptr 0
		.amdhsa_user_sgpr_kernarg_segment_ptr 1
		.amdhsa_user_sgpr_dispatch_id 0
		.amdhsa_user_sgpr_flat_scratch_init 0
		.amdhsa_user_sgpr_private_segment_size 0
		.amdhsa_uses_dynamic_stack 0
		.amdhsa_system_sgpr_private_segment_wavefront_offset 0
		.amdhsa_system_sgpr_workgroup_id_x 1
		.amdhsa_system_sgpr_workgroup_id_y 1
		.amdhsa_system_sgpr_workgroup_id_z 0
		.amdhsa_system_sgpr_workgroup_info 0
		.amdhsa_system_vgpr_workitem_id 1
		.amdhsa_next_free_vgpr 35
		.amdhsa_next_free_sgpr 61
		.amdhsa_reserve_vcc 1
		.amdhsa_reserve_flat_scratch 0
		.amdhsa_float_round_mode_32 0
		.amdhsa_float_round_mode_16_64 0
		.amdhsa_float_denorm_mode_32 3
		.amdhsa_float_denorm_mode_16_64 3
		.amdhsa_dx10_clamp 1
		.amdhsa_ieee_mode 1
		.amdhsa_fp16_overflow 0
		.amdhsa_exception_fp_ieee_invalid_op 0
		.amdhsa_exception_fp_denorm_src 0
		.amdhsa_exception_fp_ieee_div_zero 0
		.amdhsa_exception_fp_ieee_overflow 0
		.amdhsa_exception_fp_ieee_underflow 0
		.amdhsa_exception_fp_ieee_inexact 0
		.amdhsa_exception_int_div_zero 0
	.end_amdhsa_kernel
	.section	.text._ZN2at6native12_GLOBAL__N_126adaptive_average_gradinputIN3c108BFloat16EEEvPT_PKS5_iiii,"axG",@progbits,_ZN2at6native12_GLOBAL__N_126adaptive_average_gradinputIN3c108BFloat16EEEvPT_PKS5_iiii,comdat
.Lfunc_end19:
	.size	_ZN2at6native12_GLOBAL__N_126adaptive_average_gradinputIN3c108BFloat16EEEvPT_PKS5_iiii, .Lfunc_end19-_ZN2at6native12_GLOBAL__N_126adaptive_average_gradinputIN3c108BFloat16EEEvPT_PKS5_iiii
                                        ; -- End function
	.set _ZN2at6native12_GLOBAL__N_126adaptive_average_gradinputIN3c108BFloat16EEEvPT_PKS5_iiii.num_vgpr, 35
	.set _ZN2at6native12_GLOBAL__N_126adaptive_average_gradinputIN3c108BFloat16EEEvPT_PKS5_iiii.num_agpr, 0
	.set _ZN2at6native12_GLOBAL__N_126adaptive_average_gradinputIN3c108BFloat16EEEvPT_PKS5_iiii.numbered_sgpr, 61
	.set _ZN2at6native12_GLOBAL__N_126adaptive_average_gradinputIN3c108BFloat16EEEvPT_PKS5_iiii.num_named_barrier, 0
	.set _ZN2at6native12_GLOBAL__N_126adaptive_average_gradinputIN3c108BFloat16EEEvPT_PKS5_iiii.private_seg_size, 0
	.set _ZN2at6native12_GLOBAL__N_126adaptive_average_gradinputIN3c108BFloat16EEEvPT_PKS5_iiii.uses_vcc, 1
	.set _ZN2at6native12_GLOBAL__N_126adaptive_average_gradinputIN3c108BFloat16EEEvPT_PKS5_iiii.uses_flat_scratch, 0
	.set _ZN2at6native12_GLOBAL__N_126adaptive_average_gradinputIN3c108BFloat16EEEvPT_PKS5_iiii.has_dyn_sized_stack, 0
	.set _ZN2at6native12_GLOBAL__N_126adaptive_average_gradinputIN3c108BFloat16EEEvPT_PKS5_iiii.has_recursion, 0
	.set _ZN2at6native12_GLOBAL__N_126adaptive_average_gradinputIN3c108BFloat16EEEvPT_PKS5_iiii.has_indirect_call, 0
	.section	.AMDGPU.csdata,"",@progbits
; Kernel info:
; codeLenInByte = 4612
; TotalNumSgprs: 65
; NumVgprs: 35
; ScratchSize: 0
; MemoryBound: 0
; FloatMode: 240
; IeeeMode: 1
; LDSByteSize: 0 bytes/workgroup (compile time only)
; SGPRBlocks: 8
; VGPRBlocks: 8
; NumSGPRsForWavesPerEU: 65
; NumVGPRsForWavesPerEU: 35
; Occupancy: 7
; WaveLimiterHint : 0
; COMPUTE_PGM_RSRC2:SCRATCH_EN: 0
; COMPUTE_PGM_RSRC2:USER_SGPR: 6
; COMPUTE_PGM_RSRC2:TRAP_HANDLER: 0
; COMPUTE_PGM_RSRC2:TGID_X_EN: 1
; COMPUTE_PGM_RSRC2:TGID_Y_EN: 1
; COMPUTE_PGM_RSRC2:TGID_Z_EN: 0
; COMPUTE_PGM_RSRC2:TIDIG_COMP_CNT: 1
	.section	.AMDGPU.gpr_maximums,"",@progbits
	.set amdgpu.max_num_vgpr, 0
	.set amdgpu.max_num_agpr, 0
	.set amdgpu.max_num_sgpr, 0
	.section	.AMDGPU.csdata,"",@progbits
	.type	__hip_cuid_d875977a51cb2c5b,@object ; @__hip_cuid_d875977a51cb2c5b
	.section	.bss,"aw",@nobits
	.globl	__hip_cuid_d875977a51cb2c5b
__hip_cuid_d875977a51cb2c5b:
	.byte	0                               ; 0x0
	.size	__hip_cuid_d875977a51cb2c5b, 1

	.ident	"AMD clang version 22.0.0git (https://github.com/RadeonOpenCompute/llvm-project roc-7.2.4 26084 f58b06dce1f9c15707c5f808fd002e18c2accf7e)"
	.section	".note.GNU-stack","",@progbits
	.addrsig
	.addrsig_sym __hip_cuid_d875977a51cb2c5b
	.amdgpu_metadata
---
amdhsa.kernels:
  - .args:
      - .actual_access:  read_only
        .address_space:  global
        .offset:         0
        .size:           8
        .value_kind:     global_buffer
      - .actual_access:  write_only
        .address_space:  global
        .offset:         8
        .size:           8
        .value_kind:     global_buffer
      - .offset:         16
        .size:           4
        .value_kind:     by_value
      - .offset:         20
        .size:           4
        .value_kind:     by_value
      - .offset:         24
        .size:           4
        .value_kind:     by_value
      - .offset:         28
        .size:           4
        .value_kind:     by_value
      - .offset:         32
        .size:           4
        .value_kind:     by_value
      - .offset:         36
        .size:           4
        .value_kind:     by_value
      - .offset:         40
        .size:           4
        .value_kind:     by_value
      - .offset:         44
        .size:           4
        .value_kind:     by_value
      - .offset:         48
        .size:           4
        .value_kind:     by_value
      - .offset:         52
        .size:           4
        .value_kind:     by_value
      - .offset:         56
        .size:           4
        .value_kind:     by_value
      - .offset:         60
        .size:           4
        .value_kind:     by_value
      - .offset:         64
        .size:           4
        .value_kind:     hidden_block_count_x
      - .offset:         68
        .size:           4
        .value_kind:     hidden_block_count_y
      - .offset:         72
        .size:           4
        .value_kind:     hidden_block_count_z
      - .offset:         76
        .size:           2
        .value_kind:     hidden_group_size_x
      - .offset:         78
        .size:           2
        .value_kind:     hidden_group_size_y
      - .offset:         80
        .size:           2
        .value_kind:     hidden_group_size_z
      - .offset:         82
        .size:           2
        .value_kind:     hidden_remainder_x
      - .offset:         84
        .size:           2
        .value_kind:     hidden_remainder_y
      - .offset:         86
        .size:           2
        .value_kind:     hidden_remainder_z
      - .offset:         104
        .size:           8
        .value_kind:     hidden_global_offset_x
      - .offset:         112
        .size:           8
        .value_kind:     hidden_global_offset_y
      - .offset:         120
        .size:           8
        .value_kind:     hidden_global_offset_z
      - .offset:         128
        .size:           2
        .value_kind:     hidden_grid_dims
      - .offset:         184
        .size:           4
        .value_kind:     hidden_dynamic_lds_size
    .group_segment_fixed_size: 0
    .kernarg_segment_align: 8
    .kernarg_segment_size: 320
    .language:       OpenCL C
    .language_version:
      - 2
      - 0
    .max_flat_workgroup_size: 1024
    .name:           _ZN2at6native12_GLOBAL__N_126adaptive_average_pool_nhwcIidEEvPKT0_PS3_iiiiiiiiT_S7_S7_S7_
    .private_segment_fixed_size: 0
    .sgpr_count:     52
    .sgpr_spill_count: 0
    .symbol:         _ZN2at6native12_GLOBAL__N_126adaptive_average_pool_nhwcIidEEvPKT0_PS3_iiiiiiiiT_S7_S7_S7_.kd
    .uniform_work_group_size: 1
    .uses_dynamic_stack: false
    .vgpr_count:     31
    .vgpr_spill_count: 0
    .wavefront_size: 64
  - .args:
      - .actual_access:  read_only
        .address_space:  global
        .offset:         0
        .size:           8
        .value_kind:     global_buffer
      - .actual_access:  write_only
        .address_space:  global
        .offset:         8
        .size:           8
        .value_kind:     global_buffer
      - .offset:         16
        .size:           4
        .value_kind:     by_value
      - .offset:         20
        .size:           4
        .value_kind:     by_value
      - .offset:         24
        .size:           4
        .value_kind:     by_value
      - .offset:         28
        .size:           4
        .value_kind:     by_value
      - .offset:         32
        .size:           4
        .value_kind:     by_value
      - .offset:         36
        .size:           4
        .value_kind:     by_value
      - .offset:         40
        .size:           4
        .value_kind:     by_value
      - .offset:         44
        .size:           4
        .value_kind:     by_value
      - .offset:         48
        .size:           4
        .value_kind:     by_value
      - .offset:         52
        .size:           4
        .value_kind:     by_value
      - .offset:         56
        .size:           4
        .value_kind:     by_value
      - .offset:         60
        .size:           4
        .value_kind:     by_value
      - .offset:         64
        .size:           4
        .value_kind:     hidden_block_count_x
      - .offset:         68
        .size:           4
        .value_kind:     hidden_block_count_y
      - .offset:         72
        .size:           4
        .value_kind:     hidden_block_count_z
      - .offset:         76
        .size:           2
        .value_kind:     hidden_group_size_x
      - .offset:         78
        .size:           2
        .value_kind:     hidden_group_size_y
      - .offset:         80
        .size:           2
        .value_kind:     hidden_group_size_z
      - .offset:         82
        .size:           2
        .value_kind:     hidden_remainder_x
      - .offset:         84
        .size:           2
        .value_kind:     hidden_remainder_y
      - .offset:         86
        .size:           2
        .value_kind:     hidden_remainder_z
      - .offset:         104
        .size:           8
        .value_kind:     hidden_global_offset_x
      - .offset:         112
        .size:           8
        .value_kind:     hidden_global_offset_y
      - .offset:         120
        .size:           8
        .value_kind:     hidden_global_offset_z
      - .offset:         128
        .size:           2
        .value_kind:     hidden_grid_dims
      - .offset:         184
        .size:           4
        .value_kind:     hidden_dynamic_lds_size
    .group_segment_fixed_size: 0
    .kernarg_segment_align: 8
    .kernarg_segment_size: 320
    .language:       OpenCL C
    .language_version:
      - 2
      - 0
    .max_flat_workgroup_size: 1024
    .name:           _ZN2at6native12_GLOBAL__N_126adaptive_average_pool_nhwcIifEEvPKT0_PS3_iiiiiiiiT_S7_S7_S7_
    .private_segment_fixed_size: 0
    .sgpr_count:     52
    .sgpr_spill_count: 0
    .symbol:         _ZN2at6native12_GLOBAL__N_126adaptive_average_pool_nhwcIifEEvPKT0_PS3_iiiiiiiiT_S7_S7_S7_.kd
    .uniform_work_group_size: 1
    .uses_dynamic_stack: false
    .vgpr_count:     28
    .vgpr_spill_count: 0
    .wavefront_size: 64
  - .args:
      - .actual_access:  read_only
        .address_space:  global
        .offset:         0
        .size:           8
        .value_kind:     global_buffer
      - .actual_access:  write_only
        .address_space:  global
        .offset:         8
        .size:           8
        .value_kind:     global_buffer
      - .offset:         16
        .size:           4
        .value_kind:     by_value
      - .offset:         20
        .size:           4
        .value_kind:     by_value
      - .offset:         24
        .size:           4
        .value_kind:     by_value
      - .offset:         28
        .size:           4
        .value_kind:     by_value
      - .offset:         32
        .size:           4
        .value_kind:     by_value
      - .offset:         36
        .size:           4
        .value_kind:     by_value
      - .offset:         40
        .size:           4
        .value_kind:     by_value
      - .offset:         44
        .size:           4
        .value_kind:     by_value
      - .offset:         48
        .size:           4
        .value_kind:     by_value
      - .offset:         52
        .size:           4
        .value_kind:     by_value
      - .offset:         56
        .size:           4
        .value_kind:     by_value
      - .offset:         60
        .size:           4
        .value_kind:     by_value
      - .offset:         64
        .size:           4
        .value_kind:     hidden_block_count_x
      - .offset:         68
        .size:           4
        .value_kind:     hidden_block_count_y
      - .offset:         72
        .size:           4
        .value_kind:     hidden_block_count_z
      - .offset:         76
        .size:           2
        .value_kind:     hidden_group_size_x
      - .offset:         78
        .size:           2
        .value_kind:     hidden_group_size_y
      - .offset:         80
        .size:           2
        .value_kind:     hidden_group_size_z
      - .offset:         82
        .size:           2
        .value_kind:     hidden_remainder_x
      - .offset:         84
        .size:           2
        .value_kind:     hidden_remainder_y
      - .offset:         86
        .size:           2
        .value_kind:     hidden_remainder_z
      - .offset:         104
        .size:           8
        .value_kind:     hidden_global_offset_x
      - .offset:         112
        .size:           8
        .value_kind:     hidden_global_offset_y
      - .offset:         120
        .size:           8
        .value_kind:     hidden_global_offset_z
      - .offset:         128
        .size:           2
        .value_kind:     hidden_grid_dims
      - .offset:         184
        .size:           4
        .value_kind:     hidden_dynamic_lds_size
    .group_segment_fixed_size: 0
    .kernarg_segment_align: 8
    .kernarg_segment_size: 320
    .language:       OpenCL C
    .language_version:
      - 2
      - 0
    .max_flat_workgroup_size: 1024
    .name:           _ZN2at6native12_GLOBAL__N_126adaptive_average_pool_nhwcIiN3c104HalfEEEvPKT0_PS5_iiiiiiiiT_S9_S9_S9_
    .private_segment_fixed_size: 0
    .sgpr_count:     52
    .sgpr_spill_count: 0
    .symbol:         _ZN2at6native12_GLOBAL__N_126adaptive_average_pool_nhwcIiN3c104HalfEEEvPKT0_PS5_iiiiiiiiT_S9_S9_S9_.kd
    .uniform_work_group_size: 1
    .uses_dynamic_stack: false
    .vgpr_count:     28
    .vgpr_spill_count: 0
    .wavefront_size: 64
  - .args:
      - .actual_access:  read_only
        .address_space:  global
        .offset:         0
        .size:           8
        .value_kind:     global_buffer
      - .actual_access:  write_only
        .address_space:  global
        .offset:         8
        .size:           8
        .value_kind:     global_buffer
      - .offset:         16
        .size:           4
        .value_kind:     by_value
      - .offset:         20
        .size:           4
        .value_kind:     by_value
      - .offset:         24
        .size:           4
        .value_kind:     by_value
      - .offset:         28
        .size:           4
        .value_kind:     by_value
      - .offset:         32
        .size:           4
        .value_kind:     by_value
      - .offset:         36
        .size:           4
        .value_kind:     by_value
      - .offset:         40
        .size:           4
        .value_kind:     by_value
      - .offset:         44
        .size:           4
        .value_kind:     by_value
      - .offset:         48
        .size:           4
        .value_kind:     by_value
      - .offset:         52
        .size:           4
        .value_kind:     by_value
      - .offset:         56
        .size:           4
        .value_kind:     by_value
      - .offset:         60
        .size:           4
        .value_kind:     by_value
      - .offset:         64
        .size:           4
        .value_kind:     hidden_block_count_x
      - .offset:         68
        .size:           4
        .value_kind:     hidden_block_count_y
      - .offset:         72
        .size:           4
        .value_kind:     hidden_block_count_z
      - .offset:         76
        .size:           2
        .value_kind:     hidden_group_size_x
      - .offset:         78
        .size:           2
        .value_kind:     hidden_group_size_y
      - .offset:         80
        .size:           2
        .value_kind:     hidden_group_size_z
      - .offset:         82
        .size:           2
        .value_kind:     hidden_remainder_x
      - .offset:         84
        .size:           2
        .value_kind:     hidden_remainder_y
      - .offset:         86
        .size:           2
        .value_kind:     hidden_remainder_z
      - .offset:         104
        .size:           8
        .value_kind:     hidden_global_offset_x
      - .offset:         112
        .size:           8
        .value_kind:     hidden_global_offset_y
      - .offset:         120
        .size:           8
        .value_kind:     hidden_global_offset_z
      - .offset:         128
        .size:           2
        .value_kind:     hidden_grid_dims
      - .offset:         184
        .size:           4
        .value_kind:     hidden_dynamic_lds_size
    .group_segment_fixed_size: 0
    .kernarg_segment_align: 8
    .kernarg_segment_size: 320
    .language:       OpenCL C
    .language_version:
      - 2
      - 0
    .max_flat_workgroup_size: 1024
    .name:           _ZN2at6native12_GLOBAL__N_126adaptive_average_pool_nhwcIiN3c108BFloat16EEEvPKT0_PS5_iiiiiiiiT_S9_S9_S9_
    .private_segment_fixed_size: 0
    .sgpr_count:     53
    .sgpr_spill_count: 0
    .symbol:         _ZN2at6native12_GLOBAL__N_126adaptive_average_pool_nhwcIiN3c108BFloat16EEEvPKT0_PS5_iiiiiiiiT_S9_S9_S9_.kd
    .uniform_work_group_size: 1
    .uses_dynamic_stack: false
    .vgpr_count:     28
    .vgpr_spill_count: 0
    .wavefront_size: 64
  - .args:
      - .address_space:  global
        .offset:         0
        .size:           8
        .value_kind:     global_buffer
      - .address_space:  global
        .offset:         8
        .size:           8
        .value_kind:     global_buffer
      - .offset:         16
        .size:           4
        .value_kind:     by_value
      - .offset:         20
        .size:           4
        .value_kind:     by_value
      - .offset:         24
        .size:           4
        .value_kind:     by_value
      - .offset:         28
        .size:           4
        .value_kind:     by_value
      - .offset:         32
        .size:           8
        .value_kind:     by_value
      - .offset:         40
        .size:           8
        .value_kind:     by_value
      - .offset:         48
        .size:           8
        .value_kind:     by_value
      - .offset:         56
        .size:           4
        .value_kind:     hidden_block_count_x
      - .offset:         60
        .size:           4
        .value_kind:     hidden_block_count_y
      - .offset:         64
        .size:           4
        .value_kind:     hidden_block_count_z
      - .offset:         68
        .size:           2
        .value_kind:     hidden_group_size_x
      - .offset:         70
        .size:           2
        .value_kind:     hidden_group_size_y
      - .offset:         72
        .size:           2
        .value_kind:     hidden_group_size_z
      - .offset:         74
        .size:           2
        .value_kind:     hidden_remainder_x
      - .offset:         76
        .size:           2
        .value_kind:     hidden_remainder_y
      - .offset:         78
        .size:           2
        .value_kind:     hidden_remainder_z
      - .offset:         96
        .size:           8
        .value_kind:     hidden_global_offset_x
      - .offset:         104
        .size:           8
        .value_kind:     hidden_global_offset_y
      - .offset:         112
        .size:           8
        .value_kind:     hidden_global_offset_z
      - .offset:         120
        .size:           2
        .value_kind:     hidden_grid_dims
    .group_segment_fixed_size: 0
    .kernarg_segment_align: 8
    .kernarg_segment_size: 312
    .language:       OpenCL C
    .language_version:
      - 2
      - 0
    .max_flat_workgroup_size: 1024
    .name:           _ZN2at6native12_GLOBAL__N_121adaptive_average_poolIdEEvPKT_PS3_iiiilll
    .private_segment_fixed_size: 0
    .sgpr_count:     54
    .sgpr_spill_count: 0
    .symbol:         _ZN2at6native12_GLOBAL__N_121adaptive_average_poolIdEEvPKT_PS3_iiiilll.kd
    .uniform_work_group_size: 1
    .uses_dynamic_stack: false
    .vgpr_count:     25
    .vgpr_spill_count: 0
    .wavefront_size: 64
  - .args:
      - .address_space:  global
        .offset:         0
        .size:           8
        .value_kind:     global_buffer
      - .address_space:  global
        .offset:         8
        .size:           8
        .value_kind:     global_buffer
      - .offset:         16
        .size:           4
        .value_kind:     by_value
      - .offset:         20
        .size:           4
        .value_kind:     by_value
      - .offset:         24
        .size:           4
        .value_kind:     by_value
      - .offset:         28
        .size:           4
        .value_kind:     by_value
      - .offset:         32
        .size:           8
        .value_kind:     by_value
      - .offset:         40
        .size:           8
        .value_kind:     by_value
      - .offset:         48
        .size:           8
        .value_kind:     by_value
      - .offset:         56
        .size:           4
        .value_kind:     hidden_block_count_x
      - .offset:         60
        .size:           4
        .value_kind:     hidden_block_count_y
      - .offset:         64
        .size:           4
        .value_kind:     hidden_block_count_z
      - .offset:         68
        .size:           2
        .value_kind:     hidden_group_size_x
      - .offset:         70
        .size:           2
        .value_kind:     hidden_group_size_y
      - .offset:         72
        .size:           2
        .value_kind:     hidden_group_size_z
      - .offset:         74
        .size:           2
        .value_kind:     hidden_remainder_x
      - .offset:         76
        .size:           2
        .value_kind:     hidden_remainder_y
      - .offset:         78
        .size:           2
        .value_kind:     hidden_remainder_z
      - .offset:         96
        .size:           8
        .value_kind:     hidden_global_offset_x
      - .offset:         104
        .size:           8
        .value_kind:     hidden_global_offset_y
      - .offset:         112
        .size:           8
        .value_kind:     hidden_global_offset_z
      - .offset:         120
        .size:           2
        .value_kind:     hidden_grid_dims
    .group_segment_fixed_size: 0
    .kernarg_segment_align: 8
    .kernarg_segment_size: 312
    .language:       OpenCL C
    .language_version:
      - 2
      - 0
    .max_flat_workgroup_size: 1024
    .name:           _ZN2at6native12_GLOBAL__N_121adaptive_average_poolIfEEvPKT_PS3_iiiilll
    .private_segment_fixed_size: 0
    .sgpr_count:     54
    .sgpr_spill_count: 0
    .symbol:         _ZN2at6native12_GLOBAL__N_121adaptive_average_poolIfEEvPKT_PS3_iiiilll.kd
    .uniform_work_group_size: 1
    .uses_dynamic_stack: false
    .vgpr_count:     22
    .vgpr_spill_count: 0
    .wavefront_size: 64
  - .args:
      - .address_space:  global
        .offset:         0
        .size:           8
        .value_kind:     global_buffer
      - .address_space:  global
        .offset:         8
        .size:           8
        .value_kind:     global_buffer
      - .offset:         16
        .size:           4
        .value_kind:     by_value
      - .offset:         20
        .size:           4
        .value_kind:     by_value
      - .offset:         24
        .size:           4
        .value_kind:     by_value
      - .offset:         28
        .size:           4
        .value_kind:     by_value
      - .offset:         32
        .size:           8
        .value_kind:     by_value
      - .offset:         40
        .size:           8
        .value_kind:     by_value
      - .offset:         48
        .size:           8
        .value_kind:     by_value
      - .offset:         56
        .size:           4
        .value_kind:     hidden_block_count_x
      - .offset:         60
        .size:           4
        .value_kind:     hidden_block_count_y
      - .offset:         64
        .size:           4
        .value_kind:     hidden_block_count_z
      - .offset:         68
        .size:           2
        .value_kind:     hidden_group_size_x
      - .offset:         70
        .size:           2
        .value_kind:     hidden_group_size_y
      - .offset:         72
        .size:           2
        .value_kind:     hidden_group_size_z
      - .offset:         74
        .size:           2
        .value_kind:     hidden_remainder_x
      - .offset:         76
        .size:           2
        .value_kind:     hidden_remainder_y
      - .offset:         78
        .size:           2
        .value_kind:     hidden_remainder_z
      - .offset:         96
        .size:           8
        .value_kind:     hidden_global_offset_x
      - .offset:         104
        .size:           8
        .value_kind:     hidden_global_offset_y
      - .offset:         112
        .size:           8
        .value_kind:     hidden_global_offset_z
      - .offset:         120
        .size:           2
        .value_kind:     hidden_grid_dims
    .group_segment_fixed_size: 0
    .kernarg_segment_align: 8
    .kernarg_segment_size: 312
    .language:       OpenCL C
    .language_version:
      - 2
      - 0
    .max_flat_workgroup_size: 1024
    .name:           _ZN2at6native12_GLOBAL__N_121adaptive_average_poolIN3c104HalfEEEvPKT_PS5_iiiilll
    .private_segment_fixed_size: 0
    .sgpr_count:     54
    .sgpr_spill_count: 0
    .symbol:         _ZN2at6native12_GLOBAL__N_121adaptive_average_poolIN3c104HalfEEEvPKT_PS5_iiiilll.kd
    .uniform_work_group_size: 1
    .uses_dynamic_stack: false
    .vgpr_count:     22
    .vgpr_spill_count: 0
    .wavefront_size: 64
  - .args:
      - .address_space:  global
        .offset:         0
        .size:           8
        .value_kind:     global_buffer
      - .address_space:  global
        .offset:         8
        .size:           8
        .value_kind:     global_buffer
      - .offset:         16
        .size:           4
        .value_kind:     by_value
      - .offset:         20
        .size:           4
        .value_kind:     by_value
      - .offset:         24
        .size:           4
        .value_kind:     by_value
      - .offset:         28
        .size:           4
        .value_kind:     by_value
      - .offset:         32
        .size:           8
        .value_kind:     by_value
      - .offset:         40
        .size:           8
        .value_kind:     by_value
      - .offset:         48
        .size:           8
        .value_kind:     by_value
      - .offset:         56
        .size:           4
        .value_kind:     hidden_block_count_x
      - .offset:         60
        .size:           4
        .value_kind:     hidden_block_count_y
      - .offset:         64
        .size:           4
        .value_kind:     hidden_block_count_z
      - .offset:         68
        .size:           2
        .value_kind:     hidden_group_size_x
      - .offset:         70
        .size:           2
        .value_kind:     hidden_group_size_y
      - .offset:         72
        .size:           2
        .value_kind:     hidden_group_size_z
      - .offset:         74
        .size:           2
        .value_kind:     hidden_remainder_x
      - .offset:         76
        .size:           2
        .value_kind:     hidden_remainder_y
      - .offset:         78
        .size:           2
        .value_kind:     hidden_remainder_z
      - .offset:         96
        .size:           8
        .value_kind:     hidden_global_offset_x
      - .offset:         104
        .size:           8
        .value_kind:     hidden_global_offset_y
      - .offset:         112
        .size:           8
        .value_kind:     hidden_global_offset_z
      - .offset:         120
        .size:           2
        .value_kind:     hidden_grid_dims
    .group_segment_fixed_size: 0
    .kernarg_segment_align: 8
    .kernarg_segment_size: 312
    .language:       OpenCL C
    .language_version:
      - 2
      - 0
    .max_flat_workgroup_size: 1024
    .name:           _ZN2at6native12_GLOBAL__N_121adaptive_average_poolIN3c108BFloat16EEEvPKT_PS5_iiiilll
    .private_segment_fixed_size: 0
    .sgpr_count:     55
    .sgpr_spill_count: 0
    .symbol:         _ZN2at6native12_GLOBAL__N_121adaptive_average_poolIN3c108BFloat16EEEvPKT_PS5_iiiilll.kd
    .uniform_work_group_size: 1
    .uses_dynamic_stack: false
    .vgpr_count:     23
    .vgpr_spill_count: 0
    .wavefront_size: 64
  - .args:
      - .actual_access:  write_only
        .address_space:  global
        .offset:         0
        .size:           8
        .value_kind:     global_buffer
      - .actual_access:  read_only
        .address_space:  global
        .offset:         8
        .size:           8
        .value_kind:     global_buffer
      - .offset:         16
        .size:           4
        .value_kind:     by_value
      - .offset:         20
        .size:           4
        .value_kind:     by_value
      - .offset:         24
        .size:           4
        .value_kind:     by_value
      - .offset:         28
        .size:           4
        .value_kind:     by_value
      - .offset:         32
        .size:           4
        .value_kind:     by_value
      - .offset:         36
        .size:           4
        .value_kind:     by_value
      - .offset:         40
        .size:           4
        .value_kind:     by_value
      - .offset:         44
        .size:           4
        .value_kind:     by_value
      - .offset:         48
        .size:           4
        .value_kind:     by_value
      - .offset:         52
        .size:           4
        .value_kind:     by_value
      - .offset:         56
        .size:           4
        .value_kind:     by_value
      - .offset:         60
        .size:           4
        .value_kind:     by_value
      - .offset:         64
        .size:           4
        .value_kind:     hidden_block_count_x
      - .offset:         68
        .size:           4
        .value_kind:     hidden_block_count_y
      - .offset:         72
        .size:           4
        .value_kind:     hidden_block_count_z
      - .offset:         76
        .size:           2
        .value_kind:     hidden_group_size_x
      - .offset:         78
        .size:           2
        .value_kind:     hidden_group_size_y
      - .offset:         80
        .size:           2
        .value_kind:     hidden_group_size_z
      - .offset:         82
        .size:           2
        .value_kind:     hidden_remainder_x
      - .offset:         84
        .size:           2
        .value_kind:     hidden_remainder_y
      - .offset:         86
        .size:           2
        .value_kind:     hidden_remainder_z
      - .offset:         104
        .size:           8
        .value_kind:     hidden_global_offset_x
      - .offset:         112
        .size:           8
        .value_kind:     hidden_global_offset_y
      - .offset:         120
        .size:           8
        .value_kind:     hidden_global_offset_z
      - .offset:         128
        .size:           2
        .value_kind:     hidden_grid_dims
      - .offset:         184
        .size:           4
        .value_kind:     hidden_dynamic_lds_size
    .group_segment_fixed_size: 0
    .kernarg_segment_align: 8
    .kernarg_segment_size: 320
    .language:       OpenCL C
    .language_version:
      - 2
      - 0
    .max_flat_workgroup_size: 1024
    .name:           _ZN2at6native12_GLOBAL__N_131adaptive_average_gradinput_nhwcIidEEvPT0_PKS3_iiiiiiiiT_S7_S7_S7_
    .private_segment_fixed_size: 0
    .sgpr_count:     51
    .sgpr_spill_count: 0
    .symbol:         _ZN2at6native12_GLOBAL__N_131adaptive_average_gradinput_nhwcIidEEvPT0_PKS3_iiiiiiiiT_S7_S7_S7_.kd
    .uniform_work_group_size: 1
    .uses_dynamic_stack: false
    .vgpr_count:     31
    .vgpr_spill_count: 0
    .wavefront_size: 64
  - .args:
      - .actual_access:  write_only
        .address_space:  global
        .offset:         0
        .size:           8
        .value_kind:     global_buffer
      - .actual_access:  read_only
        .address_space:  global
        .offset:         8
        .size:           8
        .value_kind:     global_buffer
      - .offset:         16
        .size:           4
        .value_kind:     by_value
      - .offset:         20
        .size:           4
        .value_kind:     by_value
      - .offset:         24
        .size:           4
        .value_kind:     by_value
      - .offset:         28
        .size:           4
        .value_kind:     by_value
      - .offset:         32
        .size:           4
        .value_kind:     by_value
      - .offset:         36
        .size:           4
        .value_kind:     by_value
      - .offset:         40
        .size:           4
        .value_kind:     by_value
      - .offset:         44
        .size:           4
        .value_kind:     by_value
      - .offset:         48
        .size:           4
        .value_kind:     by_value
      - .offset:         52
        .size:           4
        .value_kind:     by_value
      - .offset:         56
        .size:           4
        .value_kind:     by_value
      - .offset:         60
        .size:           4
        .value_kind:     by_value
      - .offset:         64
        .size:           4
        .value_kind:     hidden_block_count_x
      - .offset:         68
        .size:           4
        .value_kind:     hidden_block_count_y
      - .offset:         72
        .size:           4
        .value_kind:     hidden_block_count_z
      - .offset:         76
        .size:           2
        .value_kind:     hidden_group_size_x
      - .offset:         78
        .size:           2
        .value_kind:     hidden_group_size_y
      - .offset:         80
        .size:           2
        .value_kind:     hidden_group_size_z
      - .offset:         82
        .size:           2
        .value_kind:     hidden_remainder_x
      - .offset:         84
        .size:           2
        .value_kind:     hidden_remainder_y
      - .offset:         86
        .size:           2
        .value_kind:     hidden_remainder_z
      - .offset:         104
        .size:           8
        .value_kind:     hidden_global_offset_x
      - .offset:         112
        .size:           8
        .value_kind:     hidden_global_offset_y
      - .offset:         120
        .size:           8
        .value_kind:     hidden_global_offset_z
      - .offset:         128
        .size:           2
        .value_kind:     hidden_grid_dims
      - .offset:         184
        .size:           4
        .value_kind:     hidden_dynamic_lds_size
    .group_segment_fixed_size: 0
    .kernarg_segment_align: 8
    .kernarg_segment_size: 320
    .language:       OpenCL C
    .language_version:
      - 2
      - 0
    .max_flat_workgroup_size: 1024
    .name:           _ZN2at6native12_GLOBAL__N_131adaptive_average_gradinput_nhwcIifEEvPT0_PKS3_iiiiiiiiT_S7_S7_S7_
    .private_segment_fixed_size: 0
    .sgpr_count:     51
    .sgpr_spill_count: 0
    .symbol:         _ZN2at6native12_GLOBAL__N_131adaptive_average_gradinput_nhwcIifEEvPT0_PKS3_iiiiiiiiT_S7_S7_S7_.kd
    .uniform_work_group_size: 1
    .uses_dynamic_stack: false
    .vgpr_count:     28
    .vgpr_spill_count: 0
    .wavefront_size: 64
  - .args:
      - .actual_access:  write_only
        .address_space:  global
        .offset:         0
        .size:           8
        .value_kind:     global_buffer
      - .actual_access:  read_only
        .address_space:  global
        .offset:         8
        .size:           8
        .value_kind:     global_buffer
      - .offset:         16
        .size:           4
        .value_kind:     by_value
      - .offset:         20
        .size:           4
        .value_kind:     by_value
      - .offset:         24
        .size:           4
        .value_kind:     by_value
      - .offset:         28
        .size:           4
        .value_kind:     by_value
      - .offset:         32
        .size:           4
        .value_kind:     by_value
      - .offset:         36
        .size:           4
        .value_kind:     by_value
      - .offset:         40
        .size:           4
        .value_kind:     by_value
      - .offset:         44
        .size:           4
        .value_kind:     by_value
      - .offset:         48
        .size:           4
        .value_kind:     by_value
      - .offset:         52
        .size:           4
        .value_kind:     by_value
      - .offset:         56
        .size:           4
        .value_kind:     by_value
      - .offset:         60
        .size:           4
        .value_kind:     by_value
      - .offset:         64
        .size:           4
        .value_kind:     hidden_block_count_x
      - .offset:         68
        .size:           4
        .value_kind:     hidden_block_count_y
      - .offset:         72
        .size:           4
        .value_kind:     hidden_block_count_z
      - .offset:         76
        .size:           2
        .value_kind:     hidden_group_size_x
      - .offset:         78
        .size:           2
        .value_kind:     hidden_group_size_y
      - .offset:         80
        .size:           2
        .value_kind:     hidden_group_size_z
      - .offset:         82
        .size:           2
        .value_kind:     hidden_remainder_x
      - .offset:         84
        .size:           2
        .value_kind:     hidden_remainder_y
      - .offset:         86
        .size:           2
        .value_kind:     hidden_remainder_z
      - .offset:         104
        .size:           8
        .value_kind:     hidden_global_offset_x
      - .offset:         112
        .size:           8
        .value_kind:     hidden_global_offset_y
      - .offset:         120
        .size:           8
        .value_kind:     hidden_global_offset_z
      - .offset:         128
        .size:           2
        .value_kind:     hidden_grid_dims
      - .offset:         184
        .size:           4
        .value_kind:     hidden_dynamic_lds_size
    .group_segment_fixed_size: 0
    .kernarg_segment_align: 8
    .kernarg_segment_size: 320
    .language:       OpenCL C
    .language_version:
      - 2
      - 0
    .max_flat_workgroup_size: 1024
    .name:           _ZN2at6native12_GLOBAL__N_131adaptive_average_gradinput_nhwcIiN3c104HalfEEEvPT0_PKS5_iiiiiiiiT_S9_S9_S9_
    .private_segment_fixed_size: 0
    .sgpr_count:     51
    .sgpr_spill_count: 0
    .symbol:         _ZN2at6native12_GLOBAL__N_131adaptive_average_gradinput_nhwcIiN3c104HalfEEEvPT0_PKS5_iiiiiiiiT_S9_S9_S9_.kd
    .uniform_work_group_size: 1
    .uses_dynamic_stack: false
    .vgpr_count:     28
    .vgpr_spill_count: 0
    .wavefront_size: 64
  - .args:
      - .actual_access:  write_only
        .address_space:  global
        .offset:         0
        .size:           8
        .value_kind:     global_buffer
      - .actual_access:  read_only
        .address_space:  global
        .offset:         8
        .size:           8
        .value_kind:     global_buffer
      - .offset:         16
        .size:           4
        .value_kind:     by_value
      - .offset:         20
        .size:           4
        .value_kind:     by_value
      - .offset:         24
        .size:           4
        .value_kind:     by_value
      - .offset:         28
        .size:           4
        .value_kind:     by_value
      - .offset:         32
        .size:           4
        .value_kind:     by_value
      - .offset:         36
        .size:           4
        .value_kind:     by_value
      - .offset:         40
        .size:           4
        .value_kind:     by_value
      - .offset:         44
        .size:           4
        .value_kind:     by_value
      - .offset:         48
        .size:           4
        .value_kind:     by_value
      - .offset:         52
        .size:           4
        .value_kind:     by_value
      - .offset:         56
        .size:           4
        .value_kind:     by_value
      - .offset:         60
        .size:           4
        .value_kind:     by_value
      - .offset:         64
        .size:           4
        .value_kind:     hidden_block_count_x
      - .offset:         68
        .size:           4
        .value_kind:     hidden_block_count_y
      - .offset:         72
        .size:           4
        .value_kind:     hidden_block_count_z
      - .offset:         76
        .size:           2
        .value_kind:     hidden_group_size_x
      - .offset:         78
        .size:           2
        .value_kind:     hidden_group_size_y
      - .offset:         80
        .size:           2
        .value_kind:     hidden_group_size_z
      - .offset:         82
        .size:           2
        .value_kind:     hidden_remainder_x
      - .offset:         84
        .size:           2
        .value_kind:     hidden_remainder_y
      - .offset:         86
        .size:           2
        .value_kind:     hidden_remainder_z
      - .offset:         104
        .size:           8
        .value_kind:     hidden_global_offset_x
      - .offset:         112
        .size:           8
        .value_kind:     hidden_global_offset_y
      - .offset:         120
        .size:           8
        .value_kind:     hidden_global_offset_z
      - .offset:         128
        .size:           2
        .value_kind:     hidden_grid_dims
      - .offset:         184
        .size:           4
        .value_kind:     hidden_dynamic_lds_size
    .group_segment_fixed_size: 0
    .kernarg_segment_align: 8
    .kernarg_segment_size: 320
    .language:       OpenCL C
    .language_version:
      - 2
      - 0
    .max_flat_workgroup_size: 1024
    .name:           _ZN2at6native12_GLOBAL__N_131adaptive_average_gradinput_nhwcIiN3c108BFloat16EEEvPT0_PKS5_iiiiiiiiT_S9_S9_S9_
    .private_segment_fixed_size: 0
    .sgpr_count:     52
    .sgpr_spill_count: 0
    .symbol:         _ZN2at6native12_GLOBAL__N_131adaptive_average_gradinput_nhwcIiN3c108BFloat16EEEvPT0_PKS5_iiiiiiiiT_S9_S9_S9_.kd
    .uniform_work_group_size: 1
    .uses_dynamic_stack: false
    .vgpr_count:     27
    .vgpr_spill_count: 0
    .wavefront_size: 64
  - .args:
      - .address_space:  global
        .offset:         0
        .size:           8
        .value_kind:     global_buffer
      - .address_space:  global
        .offset:         8
        .size:           8
        .value_kind:     global_buffer
      - .offset:         16
        .size:           4
        .value_kind:     by_value
      - .offset:         20
        .size:           4
        .value_kind:     by_value
      - .offset:         24
        .size:           4
        .value_kind:     by_value
      - .offset:         28
        .size:           4
        .value_kind:     by_value
      - .offset:         32
        .size:           4
        .value_kind:     hidden_block_count_x
      - .offset:         36
        .size:           4
        .value_kind:     hidden_block_count_y
      - .offset:         40
        .size:           4
        .value_kind:     hidden_block_count_z
      - .offset:         44
        .size:           2
        .value_kind:     hidden_group_size_x
      - .offset:         46
        .size:           2
        .value_kind:     hidden_group_size_y
      - .offset:         48
        .size:           2
        .value_kind:     hidden_group_size_z
      - .offset:         50
        .size:           2
        .value_kind:     hidden_remainder_x
      - .offset:         52
        .size:           2
        .value_kind:     hidden_remainder_y
      - .offset:         54
        .size:           2
        .value_kind:     hidden_remainder_z
      - .offset:         72
        .size:           8
        .value_kind:     hidden_global_offset_x
      - .offset:         80
        .size:           8
        .value_kind:     hidden_global_offset_y
      - .offset:         88
        .size:           8
        .value_kind:     hidden_global_offset_z
      - .offset:         96
        .size:           2
        .value_kind:     hidden_grid_dims
    .group_segment_fixed_size: 0
    .kernarg_segment_align: 8
    .kernarg_segment_size: 288
    .language:       OpenCL C
    .language_version:
      - 2
      - 0
    .max_flat_workgroup_size: 1024
    .name:           _ZN2at6native12_GLOBAL__N_133atomic_adaptive_average_gradinputIdEEvPT_PKS3_iiii
    .private_segment_fixed_size: 0
    .sgpr_count:     51
    .sgpr_spill_count: 0
    .symbol:         _ZN2at6native12_GLOBAL__N_133atomic_adaptive_average_gradinputIdEEvPT_PKS3_iiii.kd
    .uniform_work_group_size: 1
    .uses_dynamic_stack: false
    .vgpr_count:     30
    .vgpr_spill_count: 0
    .wavefront_size: 64
  - .args:
      - .address_space:  global
        .offset:         0
        .size:           8
        .value_kind:     global_buffer
      - .address_space:  global
        .offset:         8
        .size:           8
        .value_kind:     global_buffer
      - .offset:         16
        .size:           4
        .value_kind:     by_value
      - .offset:         20
        .size:           4
        .value_kind:     by_value
      - .offset:         24
        .size:           4
        .value_kind:     by_value
      - .offset:         28
        .size:           4
        .value_kind:     by_value
      - .offset:         32
        .size:           4
        .value_kind:     hidden_block_count_x
      - .offset:         36
        .size:           4
        .value_kind:     hidden_block_count_y
      - .offset:         40
        .size:           4
        .value_kind:     hidden_block_count_z
      - .offset:         44
        .size:           2
        .value_kind:     hidden_group_size_x
      - .offset:         46
        .size:           2
        .value_kind:     hidden_group_size_y
      - .offset:         48
        .size:           2
        .value_kind:     hidden_group_size_z
      - .offset:         50
        .size:           2
        .value_kind:     hidden_remainder_x
      - .offset:         52
        .size:           2
        .value_kind:     hidden_remainder_y
      - .offset:         54
        .size:           2
        .value_kind:     hidden_remainder_z
      - .offset:         72
        .size:           8
        .value_kind:     hidden_global_offset_x
      - .offset:         80
        .size:           8
        .value_kind:     hidden_global_offset_y
      - .offset:         88
        .size:           8
        .value_kind:     hidden_global_offset_z
      - .offset:         96
        .size:           2
        .value_kind:     hidden_grid_dims
    .group_segment_fixed_size: 0
    .kernarg_segment_align: 8
    .kernarg_segment_size: 288
    .language:       OpenCL C
    .language_version:
      - 2
      - 0
    .max_flat_workgroup_size: 1024
    .name:           _ZN2at6native12_GLOBAL__N_126adaptive_average_gradinputIdEEvPT_PKS3_iiii
    .private_segment_fixed_size: 0
    .sgpr_count:     64
    .sgpr_spill_count: 0
    .symbol:         _ZN2at6native12_GLOBAL__N_126adaptive_average_gradinputIdEEvPT_PKS3_iiii.kd
    .uniform_work_group_size: 1
    .uses_dynamic_stack: false
    .vgpr_count:     39
    .vgpr_spill_count: 0
    .wavefront_size: 64
  - .args:
      - .address_space:  global
        .offset:         0
        .size:           8
        .value_kind:     global_buffer
      - .address_space:  global
        .offset:         8
        .size:           8
        .value_kind:     global_buffer
      - .offset:         16
        .size:           4
        .value_kind:     by_value
      - .offset:         20
        .size:           4
        .value_kind:     by_value
      - .offset:         24
        .size:           4
        .value_kind:     by_value
      - .offset:         28
        .size:           4
        .value_kind:     by_value
      - .offset:         32
        .size:           4
        .value_kind:     hidden_block_count_x
      - .offset:         36
        .size:           4
        .value_kind:     hidden_block_count_y
      - .offset:         40
        .size:           4
        .value_kind:     hidden_block_count_z
      - .offset:         44
        .size:           2
        .value_kind:     hidden_group_size_x
      - .offset:         46
        .size:           2
        .value_kind:     hidden_group_size_y
      - .offset:         48
        .size:           2
        .value_kind:     hidden_group_size_z
      - .offset:         50
        .size:           2
        .value_kind:     hidden_remainder_x
      - .offset:         52
        .size:           2
        .value_kind:     hidden_remainder_y
      - .offset:         54
        .size:           2
        .value_kind:     hidden_remainder_z
      - .offset:         72
        .size:           8
        .value_kind:     hidden_global_offset_x
      - .offset:         80
        .size:           8
        .value_kind:     hidden_global_offset_y
      - .offset:         88
        .size:           8
        .value_kind:     hidden_global_offset_z
      - .offset:         96
        .size:           2
        .value_kind:     hidden_grid_dims
    .group_segment_fixed_size: 0
    .kernarg_segment_align: 8
    .kernarg_segment_size: 288
    .language:       OpenCL C
    .language_version:
      - 2
      - 0
    .max_flat_workgroup_size: 1024
    .name:           _ZN2at6native12_GLOBAL__N_133atomic_adaptive_average_gradinputIfEEvPT_PKS3_iiii
    .private_segment_fixed_size: 0
    .sgpr_count:     51
    .sgpr_spill_count: 0
    .symbol:         _ZN2at6native12_GLOBAL__N_133atomic_adaptive_average_gradinputIfEEvPT_PKS3_iiii.kd
    .uniform_work_group_size: 1
    .uses_dynamic_stack: false
    .vgpr_count:     22
    .vgpr_spill_count: 0
    .wavefront_size: 64
  - .args:
      - .address_space:  global
        .offset:         0
        .size:           8
        .value_kind:     global_buffer
      - .address_space:  global
        .offset:         8
        .size:           8
        .value_kind:     global_buffer
      - .offset:         16
        .size:           4
        .value_kind:     by_value
      - .offset:         20
        .size:           4
        .value_kind:     by_value
      - .offset:         24
        .size:           4
        .value_kind:     by_value
      - .offset:         28
        .size:           4
        .value_kind:     by_value
      - .offset:         32
        .size:           4
        .value_kind:     hidden_block_count_x
      - .offset:         36
        .size:           4
        .value_kind:     hidden_block_count_y
      - .offset:         40
        .size:           4
        .value_kind:     hidden_block_count_z
      - .offset:         44
        .size:           2
        .value_kind:     hidden_group_size_x
      - .offset:         46
        .size:           2
        .value_kind:     hidden_group_size_y
      - .offset:         48
        .size:           2
        .value_kind:     hidden_group_size_z
      - .offset:         50
        .size:           2
        .value_kind:     hidden_remainder_x
      - .offset:         52
        .size:           2
        .value_kind:     hidden_remainder_y
      - .offset:         54
        .size:           2
        .value_kind:     hidden_remainder_z
      - .offset:         72
        .size:           8
        .value_kind:     hidden_global_offset_x
      - .offset:         80
        .size:           8
        .value_kind:     hidden_global_offset_y
      - .offset:         88
        .size:           8
        .value_kind:     hidden_global_offset_z
      - .offset:         96
        .size:           2
        .value_kind:     hidden_grid_dims
    .group_segment_fixed_size: 0
    .kernarg_segment_align: 8
    .kernarg_segment_size: 288
    .language:       OpenCL C
    .language_version:
      - 2
      - 0
    .max_flat_workgroup_size: 1024
    .name:           _ZN2at6native12_GLOBAL__N_126adaptive_average_gradinputIfEEvPT_PKS3_iiii
    .private_segment_fixed_size: 0
    .sgpr_count:     64
    .sgpr_spill_count: 0
    .symbol:         _ZN2at6native12_GLOBAL__N_126adaptive_average_gradinputIfEEvPT_PKS3_iiii.kd
    .uniform_work_group_size: 1
    .uses_dynamic_stack: false
    .vgpr_count:     36
    .vgpr_spill_count: 0
    .wavefront_size: 64
  - .args:
      - .address_space:  global
        .offset:         0
        .size:           8
        .value_kind:     global_buffer
      - .address_space:  global
        .offset:         8
        .size:           8
        .value_kind:     global_buffer
      - .offset:         16
        .size:           4
        .value_kind:     by_value
      - .offset:         20
        .size:           4
        .value_kind:     by_value
      - .offset:         24
        .size:           4
        .value_kind:     by_value
      - .offset:         28
        .size:           4
        .value_kind:     by_value
      - .offset:         32
        .size:           4
        .value_kind:     hidden_block_count_x
      - .offset:         36
        .size:           4
        .value_kind:     hidden_block_count_y
      - .offset:         40
        .size:           4
        .value_kind:     hidden_block_count_z
      - .offset:         44
        .size:           2
        .value_kind:     hidden_group_size_x
      - .offset:         46
        .size:           2
        .value_kind:     hidden_group_size_y
      - .offset:         48
        .size:           2
        .value_kind:     hidden_group_size_z
      - .offset:         50
        .size:           2
        .value_kind:     hidden_remainder_x
      - .offset:         52
        .size:           2
        .value_kind:     hidden_remainder_y
      - .offset:         54
        .size:           2
        .value_kind:     hidden_remainder_z
      - .offset:         72
        .size:           8
        .value_kind:     hidden_global_offset_x
      - .offset:         80
        .size:           8
        .value_kind:     hidden_global_offset_y
      - .offset:         88
        .size:           8
        .value_kind:     hidden_global_offset_z
      - .offset:         96
        .size:           2
        .value_kind:     hidden_grid_dims
    .group_segment_fixed_size: 0
    .kernarg_segment_align: 8
    .kernarg_segment_size: 288
    .language:       OpenCL C
    .language_version:
      - 2
      - 0
    .max_flat_workgroup_size: 1024
    .name:           _ZN2at6native12_GLOBAL__N_133atomic_adaptive_average_gradinputIN3c104HalfEEEvPT_PKS5_iiii
    .private_segment_fixed_size: 0
    .sgpr_count:     55
    .sgpr_spill_count: 0
    .symbol:         _ZN2at6native12_GLOBAL__N_133atomic_adaptive_average_gradinputIN3c104HalfEEEvPT_PKS5_iiii.kd
    .uniform_work_group_size: 1
    .uses_dynamic_stack: false
    .vgpr_count:     22
    .vgpr_spill_count: 0
    .wavefront_size: 64
  - .args:
      - .address_space:  global
        .offset:         0
        .size:           8
        .value_kind:     global_buffer
      - .address_space:  global
        .offset:         8
        .size:           8
        .value_kind:     global_buffer
      - .offset:         16
        .size:           4
        .value_kind:     by_value
      - .offset:         20
        .size:           4
        .value_kind:     by_value
      - .offset:         24
        .size:           4
        .value_kind:     by_value
      - .offset:         28
        .size:           4
        .value_kind:     by_value
      - .offset:         32
        .size:           4
        .value_kind:     hidden_block_count_x
      - .offset:         36
        .size:           4
        .value_kind:     hidden_block_count_y
      - .offset:         40
        .size:           4
        .value_kind:     hidden_block_count_z
      - .offset:         44
        .size:           2
        .value_kind:     hidden_group_size_x
      - .offset:         46
        .size:           2
        .value_kind:     hidden_group_size_y
      - .offset:         48
        .size:           2
        .value_kind:     hidden_group_size_z
      - .offset:         50
        .size:           2
        .value_kind:     hidden_remainder_x
      - .offset:         52
        .size:           2
        .value_kind:     hidden_remainder_y
      - .offset:         54
        .size:           2
        .value_kind:     hidden_remainder_z
      - .offset:         72
        .size:           8
        .value_kind:     hidden_global_offset_x
      - .offset:         80
        .size:           8
        .value_kind:     hidden_global_offset_y
      - .offset:         88
        .size:           8
        .value_kind:     hidden_global_offset_z
      - .offset:         96
        .size:           2
        .value_kind:     hidden_grid_dims
    .group_segment_fixed_size: 0
    .kernarg_segment_align: 8
    .kernarg_segment_size: 288
    .language:       OpenCL C
    .language_version:
      - 2
      - 0
    .max_flat_workgroup_size: 1024
    .name:           _ZN2at6native12_GLOBAL__N_126adaptive_average_gradinputIN3c104HalfEEEvPT_PKS5_iiii
    .private_segment_fixed_size: 0
    .sgpr_count:     64
    .sgpr_spill_count: 0
    .symbol:         _ZN2at6native12_GLOBAL__N_126adaptive_average_gradinputIN3c104HalfEEEvPT_PKS5_iiii.kd
    .uniform_work_group_size: 1
    .uses_dynamic_stack: false
    .vgpr_count:     33
    .vgpr_spill_count: 0
    .wavefront_size: 64
  - .args:
      - .address_space:  global
        .offset:         0
        .size:           8
        .value_kind:     global_buffer
      - .address_space:  global
        .offset:         8
        .size:           8
        .value_kind:     global_buffer
      - .offset:         16
        .size:           4
        .value_kind:     by_value
      - .offset:         20
        .size:           4
        .value_kind:     by_value
      - .offset:         24
        .size:           4
        .value_kind:     by_value
      - .offset:         28
        .size:           4
        .value_kind:     by_value
      - .offset:         32
        .size:           4
        .value_kind:     hidden_block_count_x
      - .offset:         36
        .size:           4
        .value_kind:     hidden_block_count_y
      - .offset:         40
        .size:           4
        .value_kind:     hidden_block_count_z
      - .offset:         44
        .size:           2
        .value_kind:     hidden_group_size_x
      - .offset:         46
        .size:           2
        .value_kind:     hidden_group_size_y
      - .offset:         48
        .size:           2
        .value_kind:     hidden_group_size_z
      - .offset:         50
        .size:           2
        .value_kind:     hidden_remainder_x
      - .offset:         52
        .size:           2
        .value_kind:     hidden_remainder_y
      - .offset:         54
        .size:           2
        .value_kind:     hidden_remainder_z
      - .offset:         72
        .size:           8
        .value_kind:     hidden_global_offset_x
      - .offset:         80
        .size:           8
        .value_kind:     hidden_global_offset_y
      - .offset:         88
        .size:           8
        .value_kind:     hidden_global_offset_z
      - .offset:         96
        .size:           2
        .value_kind:     hidden_grid_dims
    .group_segment_fixed_size: 0
    .kernarg_segment_align: 8
    .kernarg_segment_size: 288
    .language:       OpenCL C
    .language_version:
      - 2
      - 0
    .max_flat_workgroup_size: 1024
    .name:           _ZN2at6native12_GLOBAL__N_133atomic_adaptive_average_gradinputIN3c108BFloat16EEEvPT_PKS5_iiii
    .private_segment_fixed_size: 0
    .sgpr_count:     54
    .sgpr_spill_count: 0
    .symbol:         _ZN2at6native12_GLOBAL__N_133atomic_adaptive_average_gradinputIN3c108BFloat16EEEvPT_PKS5_iiii.kd
    .uniform_work_group_size: 1
    .uses_dynamic_stack: false
    .vgpr_count:     23
    .vgpr_spill_count: 0
    .wavefront_size: 64
  - .args:
      - .address_space:  global
        .offset:         0
        .size:           8
        .value_kind:     global_buffer
      - .address_space:  global
        .offset:         8
        .size:           8
        .value_kind:     global_buffer
      - .offset:         16
        .size:           4
        .value_kind:     by_value
      - .offset:         20
        .size:           4
        .value_kind:     by_value
      - .offset:         24
        .size:           4
        .value_kind:     by_value
      - .offset:         28
        .size:           4
        .value_kind:     by_value
      - .offset:         32
        .size:           4
        .value_kind:     hidden_block_count_x
      - .offset:         36
        .size:           4
        .value_kind:     hidden_block_count_y
      - .offset:         40
        .size:           4
        .value_kind:     hidden_block_count_z
      - .offset:         44
        .size:           2
        .value_kind:     hidden_group_size_x
      - .offset:         46
        .size:           2
        .value_kind:     hidden_group_size_y
      - .offset:         48
        .size:           2
        .value_kind:     hidden_group_size_z
      - .offset:         50
        .size:           2
        .value_kind:     hidden_remainder_x
      - .offset:         52
        .size:           2
        .value_kind:     hidden_remainder_y
      - .offset:         54
        .size:           2
        .value_kind:     hidden_remainder_z
      - .offset:         72
        .size:           8
        .value_kind:     hidden_global_offset_x
      - .offset:         80
        .size:           8
        .value_kind:     hidden_global_offset_y
      - .offset:         88
        .size:           8
        .value_kind:     hidden_global_offset_z
      - .offset:         96
        .size:           2
        .value_kind:     hidden_grid_dims
    .group_segment_fixed_size: 0
    .kernarg_segment_align: 8
    .kernarg_segment_size: 288
    .language:       OpenCL C
    .language_version:
      - 2
      - 0
    .max_flat_workgroup_size: 1024
    .name:           _ZN2at6native12_GLOBAL__N_126adaptive_average_gradinputIN3c108BFloat16EEEvPT_PKS5_iiii
    .private_segment_fixed_size: 0
    .sgpr_count:     65
    .sgpr_spill_count: 0
    .symbol:         _ZN2at6native12_GLOBAL__N_126adaptive_average_gradinputIN3c108BFloat16EEEvPT_PKS5_iiii.kd
    .uniform_work_group_size: 1
    .uses_dynamic_stack: false
    .vgpr_count:     35
    .vgpr_spill_count: 0
    .wavefront_size: 64
amdhsa.target:   amdgcn-amd-amdhsa--gfx906
amdhsa.version:
  - 1
  - 2
...

	.end_amdgpu_metadata
